;; amdgpu-corpus repo=zjin-lcf/HeCBench kind=compiled arch=gfx1250 opt=O3
	.amdgcn_target "amdgcn-amd-amdhsa--gfx1250"
	.amdhsa_code_object_version 6
	.text
	.protected	_Z6Match1PKfS0_PfPi     ; -- Begin function _Z6Match1PKfS0_PfPi
	.globl	_Z6Match1PKfS0_PfPi
	.p2align	8
	.type	_Z6Match1PKfS0_PfPi,@function
_Z6Match1PKfS0_PfPi:                    ; @_Z6Match1PKfS0_PfPi
; %bb.0:
	s_bfe_u32 s2, ttmp6, 0x4000c
	s_load_b256 s[4:11], s[0:1], 0x0
	s_add_co_i32 s2, s2, 1
	s_wait_xcnt 0x0
	s_and_b32 s0, ttmp6, 15
	s_mul_i32 s1, ttmp9, s2
	s_getreg_b32 s2, hwreg(HW_REG_IB_STS2, 6, 4)
	s_add_co_i32 s0, s0, s1
	s_cmp_eq_u32 s2, 0
	s_mov_b32 s2, 0
	s_cselect_b32 s0, ttmp9, s0
	v_mov_b32_e32 v3, 0
	v_lshl_add_u32 v2, s0, 7, v0
	s_delay_alu instid0(VALU_DEP_1) | instskip(NEXT) | instid1(VALU_DEP_1)
	v_dual_mov_b32 v4, -1 :: v_dual_lshlrev_b32 v0, 7, v2
	v_ashrrev_i32_e32 v1, 31, v0
	s_wait_kmcnt 0x0
	s_delay_alu instid0(VALU_DEP_1)
	v_lshl_add_u64 v[0:1], v[0:1], 2, s[4:5]
.LBB0_1:                                ; =>This Loop Header: Depth=1
                                        ;     Child Loop BB0_2 Depth 2
	v_mov_b32_e32 v5, 0
	s_mov_b64 s[0:1], 0
.LBB0_2:                                ;   Parent Loop BB0_1 Depth=1
                                        ; =>  This Inner Loop Header: Depth=2
	s_delay_alu instid0(VALU_DEP_2) | instid1(SALU_CYCLE_1)
	v_add_nc_u64_e32 v[14:15], s[0:1], v[0:1]
	s_add_nc_u64 s[4:5], s[6:7], s[0:1]
	s_add_nc_u64 s[0:1], s[0:1], 32
	s_clause 0x1
	global_load_b128 v[6:9], v[14:15], off
	global_load_b128 v[10:13], v[14:15], off offset:16
	s_load_b256 s[12:19], s[4:5], 0x0
	s_cmp_eq_u32 s0, 0x200
	s_wait_loadcnt 0x1
	s_wait_kmcnt 0x0
	v_fmac_f32_e32 v5, s12, v6
	s_delay_alu instid0(VALU_DEP_1) | instskip(NEXT) | instid1(VALU_DEP_1)
	v_fmac_f32_e32 v5, s13, v7
	v_fmac_f32_e32 v5, s14, v8
	s_delay_alu instid0(VALU_DEP_1) | instskip(SKIP_1) | instid1(VALU_DEP_1)
	v_fmac_f32_e32 v5, s15, v9
	s_wait_loadcnt 0x0
	v_fmac_f32_e32 v5, s16, v10
	s_delay_alu instid0(VALU_DEP_1) | instskip(NEXT) | instid1(VALU_DEP_1)
	v_fmac_f32_e32 v5, s17, v11
	v_fmac_f32_e32 v5, s18, v12
	s_delay_alu instid0(VALU_DEP_1)
	v_fmac_f32_e32 v5, s19, v13
	s_cbranch_scc0 .LBB0_2
; %bb.3:                                ;   in Loop: Header=BB0_1 Depth=1
	s_delay_alu instid0(VALU_DEP_1) | instskip(SKIP_4) | instid1(SALU_CYCLE_1)
	v_cmp_gt_f32_e32 vcc_lo, v5, v3
	s_add_nc_u64 s[6:7], s[6:7], 0x200
	v_cndmask_b32_e32 v3, v3, v5, vcc_lo
	v_cndmask_b32_e64 v4, v4, s2, vcc_lo
	s_add_co_i32 s2, s2, 1
	s_cmp_eq_u32 s2, 0x4000
	s_cbranch_scc0 .LBB0_1
; %bb.4:
	s_clause 0x1
	global_store_b32 v2, v3, s[8:9] scale_offset
	global_store_b32 v2, v4, s[10:11] scale_offset
	s_endpgm
	.section	.rodata,"a",@progbits
	.p2align	6, 0x0
	.amdhsa_kernel _Z6Match1PKfS0_PfPi
		.amdhsa_group_segment_fixed_size 0
		.amdhsa_private_segment_fixed_size 0
		.amdhsa_kernarg_size 32
		.amdhsa_user_sgpr_count 2
		.amdhsa_user_sgpr_dispatch_ptr 0
		.amdhsa_user_sgpr_queue_ptr 0
		.amdhsa_user_sgpr_kernarg_segment_ptr 1
		.amdhsa_user_sgpr_dispatch_id 0
		.amdhsa_user_sgpr_kernarg_preload_length 0
		.amdhsa_user_sgpr_kernarg_preload_offset 0
		.amdhsa_user_sgpr_private_segment_size 0
		.amdhsa_wavefront_size32 1
		.amdhsa_uses_dynamic_stack 0
		.amdhsa_enable_private_segment 0
		.amdhsa_system_sgpr_workgroup_id_x 1
		.amdhsa_system_sgpr_workgroup_id_y 0
		.amdhsa_system_sgpr_workgroup_id_z 0
		.amdhsa_system_sgpr_workgroup_info 0
		.amdhsa_system_vgpr_workitem_id 0
		.amdhsa_next_free_vgpr 16
		.amdhsa_next_free_sgpr 20
		.amdhsa_named_barrier_count 0
		.amdhsa_reserve_vcc 1
		.amdhsa_float_round_mode_32 0
		.amdhsa_float_round_mode_16_64 0
		.amdhsa_float_denorm_mode_32 3
		.amdhsa_float_denorm_mode_16_64 3
		.amdhsa_fp16_overflow 0
		.amdhsa_memory_ordered 1
		.amdhsa_forward_progress 1
		.amdhsa_inst_pref_size 3
		.amdhsa_round_robin_scheduling 0
		.amdhsa_exception_fp_ieee_invalid_op 0
		.amdhsa_exception_fp_denorm_src 0
		.amdhsa_exception_fp_ieee_div_zero 0
		.amdhsa_exception_fp_ieee_overflow 0
		.amdhsa_exception_fp_ieee_underflow 0
		.amdhsa_exception_fp_ieee_inexact 0
		.amdhsa_exception_int_div_zero 0
	.end_amdhsa_kernel
	.text
.Lfunc_end0:
	.size	_Z6Match1PKfS0_PfPi, .Lfunc_end0-_Z6Match1PKfS0_PfPi
                                        ; -- End function
	.set _Z6Match1PKfS0_PfPi.num_vgpr, 16
	.set _Z6Match1PKfS0_PfPi.num_agpr, 0
	.set _Z6Match1PKfS0_PfPi.numbered_sgpr, 20
	.set _Z6Match1PKfS0_PfPi.num_named_barrier, 0
	.set _Z6Match1PKfS0_PfPi.private_seg_size, 0
	.set _Z6Match1PKfS0_PfPi.uses_vcc, 1
	.set _Z6Match1PKfS0_PfPi.uses_flat_scratch, 0
	.set _Z6Match1PKfS0_PfPi.has_dyn_sized_stack, 0
	.set _Z6Match1PKfS0_PfPi.has_recursion, 0
	.set _Z6Match1PKfS0_PfPi.has_indirect_call, 0
	.section	.AMDGPU.csdata,"",@progbits
; Kernel info:
; codeLenInByte = 308
; TotalNumSgprs: 22
; NumVgprs: 16
; ScratchSize: 0
; MemoryBound: 0
; FloatMode: 240
; IeeeMode: 1
; LDSByteSize: 0 bytes/workgroup (compile time only)
; SGPRBlocks: 0
; VGPRBlocks: 0
; NumSGPRsForWavesPerEU: 22
; NumVGPRsForWavesPerEU: 16
; NamedBarCnt: 0
; Occupancy: 16
; WaveLimiterHint : 0
; COMPUTE_PGM_RSRC2:SCRATCH_EN: 0
; COMPUTE_PGM_RSRC2:USER_SGPR: 2
; COMPUTE_PGM_RSRC2:TRAP_HANDLER: 0
; COMPUTE_PGM_RSRC2:TGID_X_EN: 1
; COMPUTE_PGM_RSRC2:TGID_Y_EN: 0
; COMPUTE_PGM_RSRC2:TGID_Z_EN: 0
; COMPUTE_PGM_RSRC2:TIDIG_COMP_CNT: 0
	.text
	.protected	_Z6Match2PKfS0_PfPi     ; -- Begin function _Z6Match2PKfS0_PfPi
	.globl	_Z6Match2PKfS0_PfPi
	.p2align	8
	.type	_Z6Match2PKfS0_PfPi,@function
_Z6Match2PKfS0_PfPi:                    ; @_Z6Match2PKfS0_PfPi
; %bb.0:
	s_bfe_u32 s2, ttmp6, 0x4000c
	v_and_b32_e32 v6, 0x3ff, v0
	v_bfe_u32 v0, v0, 10, 10
	s_add_co_i32 s2, s2, 1
	s_and_b32 s3, ttmp6, 15
	s_mul_i32 s2, ttmp9, s2
	s_getreg_b32 s4, hwreg(HW_REG_IB_STS2, 6, 4)
	s_add_co_i32 s5, s3, s2
	v_cmp_lt_u32_e64 s2, 15, v0
	v_cmp_lt_u32_e64 s3, 0x7f, v6
	v_lshlrev_b32_e32 v4, 9, v0
	s_cmp_eq_u32 s4, 0
	v_cmp_gt_u32_e32 vcc_lo, 0x80, v6
	s_cselect_b32 s8, ttmp9, s5
	s_or_b32 s2, s2, s3
                                        ; implicit-def: $vgpr1
	s_delay_alu instid0(SALU_CYCLE_1) | instskip(NEXT) | instid1(SALU_CYCLE_1)
	s_and_saveexec_b32 s3, s2
	s_xor_b32 s2, exec_lo, s3
; %bb.1:
	v_lshlrev_b32_e32 v4, 9, v0
	s_delay_alu instid0(VALU_DEP_1)
	v_lshl_add_u32 v1, v6, 2, v4
; %bb.2:
	s_or_saveexec_b32 s3, s2
	s_load_b128 s[4:7], s[0:1], 0x10
	s_lshl_b32 s10, s8, 4
	s_xor_b32 exec_lo, exec_lo, s3
	s_cbranch_execz .LBB1_6
; %bb.3:
	s_load_b64 s[8:9], s[0:1], 0x0
	v_lshl_add_u32 v1, v6, 2, v4
	v_or_b32_e32 v2, s10, v0
	s_mov_b32 s11, 0
	s_delay_alu instid0(VALU_DEP_2) | instskip(NEXT) | instid1(VALU_DEP_2)
	v_dual_mov_b32 v5, v6 :: v_dual_mov_b32 v3, v1
	v_lshlrev_b32_e32 v2, 7, v2
.LBB1_4:                                ; =>This Inner Loop Header: Depth=1
	s_delay_alu instid0(VALU_DEP_1)
	v_dual_add_nc_u32 v7, v2, v5 :: v_dual_add_nc_u32 v8, 16, v5
	v_cmp_lt_u32_e64 s2, 0x6f, v5
	s_wait_kmcnt 0x0
	global_load_b32 v7, v7, s[8:9] scale_offset
	v_mov_b32_e32 v5, v8
	s_or_b32 s11, s2, s11
	s_wait_loadcnt 0x0
	ds_store_b32 v3, v7
	v_add_nc_u32_e32 v3, 64, v3
	s_wait_xcnt 0x0
	s_and_not1_b32 exec_lo, exec_lo, s11
	s_cbranch_execnz .LBB1_4
; %bb.5:
	s_or_b32 exec_lo, exec_lo, s11
.LBB1_6:
	s_delay_alu instid0(SALU_CYCLE_1) | instskip(SKIP_4) | instid1(VALU_DEP_3)
	s_or_b32 exec_lo, exec_lo, s3
	s_load_b64 s[2:3], s[0:1], 0x8
	v_dual_lshlrev_b32 v2, 7, v0 :: v_dual_lshlrev_b32 v7, 9, v6
	v_dual_mov_b32 v3, 0 :: v_dual_lshlrev_b32 v5, 6, v0
	v_lshl_or_b32 v8, v6, 2, 0x4000
	v_add_lshl_u32 v2, v6, v2, 2
	s_wait_xcnt 0x0
	v_cmp_eq_u32_e64 s0, 0, v0
	v_add_nc_u32_e32 v10, 0x2000, v1
	v_dual_mov_b32 v12, -1 :: v_dual_add_nc_u32 v9, -16, v6
	v_add_nc_u32_e32 v11, v8, v5
	s_wait_dscnt 0x0
	s_barrier_signal -1
	s_barrier_wait -1
	s_wait_kmcnt 0x0
	v_add_nc_u64_e32 v[0:1], s[2:3], v[2:3]
	v_add_nc_u32_e32 v2, 0x2000, v4
	s_mov_b32 s2, 0
	s_and_saveexec_b32 s3, vcc_lo
	s_cbranch_execz .LBB1_9
.LBB1_7:
	s_delay_alu instid0(VALU_DEP_2)
	v_mov_b64_e32 v[4:5], v[0:1]
	v_dual_mov_b32 v13, v10 :: v_dual_mov_b32 v14, v9
	s_mov_b32 s8, 0
.LBB1_8:                                ; =>This Inner Loop Header: Depth=1
	global_load_b32 v15, v[4:5], off
	v_add_nc_u32_e32 v14, 16, v14
	s_wait_xcnt 0x0
	v_add_nc_u64_e32 v[4:5], 64, v[4:5]
	s_wait_loadcnt 0x0
	ds_store_b32 v13, v15
	v_add_nc_u32_e32 v13, 64, v13
	v_cmp_lt_u32_e64 s1, 0x6f, v14
	s_or_b32 s8, s1, s8
	s_delay_alu instid0(SALU_CYCLE_1)
	s_and_not1_b32 exec_lo, exec_lo, s8
	s_cbranch_execnz .LBB1_8
.LBB1_9:                                ; =>This Loop Header: Depth=1
                                        ;     Child Loop BB1_10 Depth 2
	s_or_b32 exec_lo, exec_lo, s3
	v_mov_b32_e32 v4, 0
	s_mov_b32 s1, 0
	s_wait_dscnt 0x0
	s_barrier_signal -1
	s_barrier_wait -1
.LBB1_10:                               ;   Parent Loop BB1_9 Depth=1
                                        ; =>  This Inner Loop Header: Depth=2
	v_dual_add_nc_u32 v5, s1, v2 :: v_dual_add_nc_u32 v13, s1, v7
	s_add_co_i32 s1, s1, 64
	ds_load_b128 v[14:17], v5
	ds_load_b128 v[18:21], v13
	ds_load_b128 v[22:25], v13 offset:16
	ds_load_b128 v[26:29], v5 offset:16
	s_cmp_eq_u32 s1, 0x200
	s_wait_dscnt 0x2
	v_fmac_f32_e32 v4, v18, v14
	s_delay_alu instid0(VALU_DEP_1) | instskip(NEXT) | instid1(VALU_DEP_1)
	v_fmac_f32_e32 v4, v19, v15
	v_fmac_f32_e32 v4, v20, v16
	s_delay_alu instid0(VALU_DEP_1) | instskip(SKIP_4) | instid1(VALU_DEP_1)
	v_fmac_f32_e32 v4, v21, v17
	ds_load_b128 v[14:17], v13 offset:32
	ds_load_b128 v[18:21], v5 offset:32
	s_wait_dscnt 0x2
	v_fmac_f32_e32 v4, v22, v26
	v_fmac_f32_e32 v4, v23, v27
	s_delay_alu instid0(VALU_DEP_1) | instskip(NEXT) | instid1(VALU_DEP_1)
	v_fmac_f32_e32 v4, v24, v28
	v_fmac_f32_e32 v4, v25, v29
	ds_load_b128 v[22:25], v13 offset:48
	ds_load_b128 v[26:29], v5 offset:48
	s_wait_dscnt 0x2
	v_fmac_f32_e32 v4, v14, v18
	s_delay_alu instid0(VALU_DEP_1) | instskip(NEXT) | instid1(VALU_DEP_1)
	v_fmac_f32_e32 v4, v15, v19
	v_fmac_f32_e32 v4, v16, v20
	s_delay_alu instid0(VALU_DEP_1) | instskip(SKIP_1) | instid1(VALU_DEP_1)
	v_fmac_f32_e32 v4, v17, v21
	s_wait_dscnt 0x0
	v_fmac_f32_e32 v4, v22, v26
	s_delay_alu instid0(VALU_DEP_1) | instskip(NEXT) | instid1(VALU_DEP_1)
	v_fmac_f32_e32 v4, v23, v27
	v_fmac_f32_e32 v4, v24, v28
	s_delay_alu instid0(VALU_DEP_1)
	v_fmac_f32_e32 v4, v25, v29
	s_cbranch_scc0 .LBB1_10
; %bb.11:                               ;   in Loop: Header=BB1_9 Depth=1
	ds_store_b32 v11, v4
	s_wait_dscnt 0x0
	s_barrier_signal -1
	s_barrier_wait -1
	s_and_saveexec_b32 s3, s0
	s_cbranch_execz .LBB1_13
; %bb.12:                               ;   in Loop: Header=BB1_9 Depth=1
	ds_load_2addr_b32 v[4:5], v8 offset1:16
	ds_load_2addr_b32 v[14:15], v8 offset0:32 offset1:48
	s_or_b32 s8, s2, 1
	ds_load_2addr_b32 v[16:17], v8 offset0:64 offset1:80
	s_wait_dscnt 0x2
	v_cmp_gt_f32_e64 s1, v4, v3
	s_delay_alu instid0(VALU_DEP_1) | instskip(SKIP_1) | instid1(VALU_DEP_2)
	v_cndmask_b32_e64 v3, v3, v4, s1
	v_cndmask_b32_e64 v4, v12, s2, s1
	v_cmp_gt_f32_e64 s1, v5, v3
	s_delay_alu instid0(VALU_DEP_1) | instskip(NEXT) | instid1(VALU_DEP_3)
	v_cndmask_b32_e64 v3, v3, v5, s1
	v_cndmask_b32_e64 v12, v4, s8, s1
	s_or_b32 s8, s2, 2
	ds_load_2addr_b32 v[4:5], v8 offset0:96 offset1:112
	s_wait_dscnt 0x2
	v_cmp_gt_f32_e64 s1, v14, v3
	s_delay_alu instid0(VALU_DEP_1) | instskip(SKIP_2) | instid1(VALU_DEP_2)
	v_cndmask_b32_e64 v3, v3, v14, s1
	v_cndmask_b32_e64 v12, v12, s8, s1
	s_or_b32 s8, s2, 3
	v_cmp_gt_f32_e64 s1, v15, v3
	s_delay_alu instid0(VALU_DEP_1) | instskip(NEXT) | instid1(VALU_DEP_3)
	v_cndmask_b32_e64 v3, v3, v15, s1
	v_cndmask_b32_e64 v14, v12, s8, s1
	s_or_b32 s8, s2, 4
	ds_load_2addr_b32 v[12:13], v8 offset0:128 offset1:144
	s_wait_dscnt 0x2
	v_cmp_gt_f32_e64 s1, v16, v3
	s_delay_alu instid0(VALU_DEP_1) | instskip(SKIP_2) | instid1(VALU_DEP_2)
	v_cndmask_b32_e64 v3, v3, v16, s1
	v_cndmask_b32_e64 v14, v14, s8, s1
	s_or_b32 s8, s2, 5
	;; [unrolled: 12-line block ×5, first 2 shown]
	v_cmp_gt_f32_e64 s1, v15, v3
	s_delay_alu instid0(VALU_DEP_1) | instskip(NEXT) | instid1(VALU_DEP_3)
	v_cndmask_b32_e64 v3, v3, v15, s1
	v_cndmask_b32_e64 v14, v14, s8, s1
	s_or_b32 s8, s2, 12
	s_wait_dscnt 0x1
	s_delay_alu instid0(VALU_DEP_2) | instskip(NEXT) | instid1(VALU_DEP_1)
	v_cmp_gt_f32_e64 s1, v4, v3
	v_cndmask_b32_e64 v3, v3, v4, s1
	v_cndmask_b32_e64 v4, v14, s8, s1
	s_or_b32 s8, s2, 13
	s_delay_alu instid0(VALU_DEP_2) | instskip(NEXT) | instid1(VALU_DEP_1)
	v_cmp_gt_f32_e64 s1, v5, v3
	v_cndmask_b32_e64 v3, v3, v5, s1
	s_delay_alu instid0(VALU_DEP_3) | instskip(SKIP_2) | instid1(VALU_DEP_2)
	v_cndmask_b32_e64 v4, v4, s8, s1
	s_or_b32 s8, s2, 14
	s_wait_dscnt 0x0
	v_cmp_gt_f32_e64 s1, v12, v3
	s_delay_alu instid0(VALU_DEP_1) | instskip(SKIP_2) | instid1(VALU_DEP_2)
	v_cndmask_b32_e64 v3, v3, v12, s1
	v_cndmask_b32_e64 v4, v4, s8, s1
	s_or_b32 s8, s2, 15
	v_cmp_gt_f32_e64 s1, v13, v3
	s_delay_alu instid0(VALU_DEP_1) | instskip(NEXT) | instid1(VALU_DEP_3)
	v_cndmask_b32_e64 v3, v3, v13, s1
	v_cndmask_b32_e64 v12, v4, s8, s1
.LBB1_13:                               ;   in Loop: Header=BB1_9 Depth=1
	s_or_b32 exec_lo, exec_lo, s3
	v_add_nc_u64_e32 v[0:1], 0x2000, v[0:1]
	s_add_co_i32 s1, s2, 16
	s_cmp_gt_u32 s2, 0x3fef
	s_barrier_signal -1
	s_barrier_wait -1
	s_cbranch_scc1 .LBB1_15
; %bb.14:                               ;   in Loop: Header=BB1_9 Depth=1
	s_mov_b32 s2, s1
	s_and_saveexec_b32 s3, vcc_lo
	s_cbranch_execnz .LBB1_7
	s_branch .LBB1_9
.LBB1_15:
	s_and_saveexec_b32 s1, s0
	s_cbranch_execz .LBB1_17
; %bb.16:
	v_add_nc_u32_e32 v0, s10, v6
	s_clause 0x1
	global_store_b32 v0, v3, s[4:5] scale_offset
	global_store_b32 v0, v12, s[6:7] scale_offset
.LBB1_17:
	s_endpgm
	.section	.rodata,"a",@progbits
	.p2align	6, 0x0
	.amdhsa_kernel _Z6Match2PKfS0_PfPi
		.amdhsa_group_segment_fixed_size 17408
		.amdhsa_private_segment_fixed_size 0
		.amdhsa_kernarg_size 32
		.amdhsa_user_sgpr_count 2
		.amdhsa_user_sgpr_dispatch_ptr 0
		.amdhsa_user_sgpr_queue_ptr 0
		.amdhsa_user_sgpr_kernarg_segment_ptr 1
		.amdhsa_user_sgpr_dispatch_id 0
		.amdhsa_user_sgpr_kernarg_preload_length 0
		.amdhsa_user_sgpr_kernarg_preload_offset 0
		.amdhsa_user_sgpr_private_segment_size 0
		.amdhsa_wavefront_size32 1
		.amdhsa_uses_dynamic_stack 0
		.amdhsa_enable_private_segment 0
		.amdhsa_system_sgpr_workgroup_id_x 1
		.amdhsa_system_sgpr_workgroup_id_y 0
		.amdhsa_system_sgpr_workgroup_id_z 0
		.amdhsa_system_sgpr_workgroup_info 0
		.amdhsa_system_vgpr_workitem_id 1
		.amdhsa_next_free_vgpr 30
		.amdhsa_next_free_sgpr 12
		.amdhsa_named_barrier_count 0
		.amdhsa_reserve_vcc 1
		.amdhsa_float_round_mode_32 0
		.amdhsa_float_round_mode_16_64 0
		.amdhsa_float_denorm_mode_32 3
		.amdhsa_float_denorm_mode_16_64 3
		.amdhsa_fp16_overflow 0
		.amdhsa_memory_ordered 1
		.amdhsa_forward_progress 1
		.amdhsa_inst_pref_size 12
		.amdhsa_round_robin_scheduling 0
		.amdhsa_exception_fp_ieee_invalid_op 0
		.amdhsa_exception_fp_denorm_src 0
		.amdhsa_exception_fp_ieee_div_zero 0
		.amdhsa_exception_fp_ieee_overflow 0
		.amdhsa_exception_fp_ieee_underflow 0
		.amdhsa_exception_fp_ieee_inexact 0
		.amdhsa_exception_int_div_zero 0
	.end_amdhsa_kernel
	.text
.Lfunc_end1:
	.size	_Z6Match2PKfS0_PfPi, .Lfunc_end1-_Z6Match2PKfS0_PfPi
                                        ; -- End function
	.set _Z6Match2PKfS0_PfPi.num_vgpr, 30
	.set _Z6Match2PKfS0_PfPi.num_agpr, 0
	.set _Z6Match2PKfS0_PfPi.numbered_sgpr, 12
	.set _Z6Match2PKfS0_PfPi.num_named_barrier, 0
	.set _Z6Match2PKfS0_PfPi.private_seg_size, 0
	.set _Z6Match2PKfS0_PfPi.uses_vcc, 1
	.set _Z6Match2PKfS0_PfPi.uses_flat_scratch, 0
	.set _Z6Match2PKfS0_PfPi.has_dyn_sized_stack, 0
	.set _Z6Match2PKfS0_PfPi.has_recursion, 0
	.set _Z6Match2PKfS0_PfPi.has_indirect_call, 0
	.section	.AMDGPU.csdata,"",@progbits
; Kernel info:
; codeLenInByte = 1444
; TotalNumSgprs: 14
; NumVgprs: 30
; ScratchSize: 0
; MemoryBound: 0
; FloatMode: 240
; IeeeMode: 1
; LDSByteSize: 17408 bytes/workgroup (compile time only)
; SGPRBlocks: 0
; VGPRBlocks: 1
; NumSGPRsForWavesPerEU: 14
; NumVGPRsForWavesPerEU: 30
; NamedBarCnt: 0
; Occupancy: 16
; WaveLimiterHint : 0
; COMPUTE_PGM_RSRC2:SCRATCH_EN: 0
; COMPUTE_PGM_RSRC2:USER_SGPR: 2
; COMPUTE_PGM_RSRC2:TRAP_HANDLER: 0
; COMPUTE_PGM_RSRC2:TGID_X_EN: 1
; COMPUTE_PGM_RSRC2:TGID_Y_EN: 0
; COMPUTE_PGM_RSRC2:TGID_Z_EN: 0
; COMPUTE_PGM_RSRC2:TIDIG_COMP_CNT: 1
	.text
	.protected	_Z6Match3PKfS0_PfPi     ; -- Begin function _Z6Match3PKfS0_PfPi
	.globl	_Z6Match3PKfS0_PfPi
	.p2align	8
	.type	_Z6Match3PKfS0_PfPi,@function
_Z6Match3PKfS0_PfPi:                    ; @_Z6Match3PKfS0_PfPi
; %bb.0:
	s_bfe_u32 s2, ttmp6, 0x4000c
	v_and_b32_e32 v6, 0x3ff, v0
	v_bfe_u32 v0, v0, 10, 10
	s_add_co_i32 s2, s2, 1
	s_and_b32 s3, ttmp6, 15
	s_mul_i32 s2, ttmp9, s2
	s_getreg_b32 s4, hwreg(HW_REG_IB_STS2, 6, 4)
	s_add_co_i32 s5, s3, s2
	v_cmp_lt_u32_e64 s2, 15, v0
	v_cmp_lt_u32_e64 s3, 0x7f, v6
	v_lshlrev_b32_e32 v1, 2, v6
	s_cmp_eq_u32 s4, 0
	v_cmp_gt_u32_e32 vcc_lo, 0x80, v6
	s_cselect_b32 s8, ttmp9, s5
	s_or_b32 s2, s2, s3
	s_delay_alu instid0(SALU_CYCLE_1) | instskip(NEXT) | instid1(SALU_CYCLE_1)
	s_and_saveexec_b32 s3, s2
	s_xor_b32 s2, exec_lo, s3
; %bb.1:
	v_lshlrev_b32_e32 v1, 2, v6
; %bb.2:
	s_or_saveexec_b32 s3, s2
	s_load_b128 s[4:7], s[0:1], 0x10
	s_lshl_b32 s10, s8, 4
	s_xor_b32 exec_lo, exec_lo, s3
	s_cbranch_execz .LBB2_6
; %bb.3:
	s_load_b64 s[8:9], s[0:1], 0x0
	v_dual_mov_b32 v4, v6 :: v_dual_bitop2_b32 v2, s10, v0 bitop3:0x54
	v_mad_u32_u24 v3, 0x204, v0, v1
	s_mov_b32 s11, 0
	s_delay_alu instid0(VALU_DEP_2)
	v_lshlrev_b32_e32 v2, 7, v2
.LBB2_4:                                ; =>This Inner Loop Header: Depth=1
	s_delay_alu instid0(VALU_DEP_1)
	v_dual_add_nc_u32 v5, v2, v4 :: v_dual_add_nc_u32 v7, 16, v4
	v_cmp_lt_u32_e64 s2, 0x6f, v4
	s_wait_kmcnt 0x0
	global_load_b32 v5, v5, s[8:9] scale_offset
	v_mov_b32_e32 v4, v7
	s_or_b32 s11, s2, s11
	s_wait_loadcnt 0x0
	ds_store_b32 v3, v5
	v_add_nc_u32_e32 v3, 64, v3
	s_wait_xcnt 0x0
	s_and_not1_b32 exec_lo, exec_lo, s11
	s_cbranch_execnz .LBB2_4
; %bb.5:
	s_or_b32 exec_lo, exec_lo, s11
.LBB2_6:
	s_delay_alu instid0(SALU_CYCLE_1)
	s_or_b32 exec_lo, exec_lo, s3
	s_load_b64 s[2:3], s[0:1], 0x8
	v_dual_mov_b32 v3, 0 :: v_dual_lshlrev_b32 v2, 7, v0
	v_lshl_add_u32 v9, v0, 9, 0x2040
	v_lshl_add_u32 v8, v6, 2, 0x4040
	v_dual_lshlrev_b32 v4, 6, v0 :: v_dual_add_nc_u32 v10, -16, v6
	s_delay_alu instid0(VALU_DEP_4)
	v_add_lshl_u32 v2, v6, v2, 2
	s_wait_xcnt 0x0
	v_cmp_eq_u32_e64 s0, 0, v0
	v_dual_mov_b32 v12, -1 :: v_dual_add_nc_u32 v11, v9, v1
	v_mul_u32_u24_e32 v7, 0x204, v6
	s_wait_dscnt 0x0
	s_barrier_signal -1
	s_barrier_wait -1
	s_wait_kmcnt 0x0
	v_add_nc_u64_e32 v[0:1], s[2:3], v[2:3]
	v_add_nc_u32_e32 v2, v8, v4
	s_mov_b32 s2, 0
	s_and_saveexec_b32 s3, vcc_lo
	s_cbranch_execz .LBB2_9
.LBB2_7:
	s_delay_alu instid0(VALU_DEP_2)
	v_mov_b64_e32 v[4:5], v[0:1]
	v_dual_mov_b32 v13, v11 :: v_dual_mov_b32 v14, v10
	s_mov_b32 s8, 0
.LBB2_8:                                ; =>This Inner Loop Header: Depth=1
	global_load_b32 v15, v[4:5], off
	v_add_nc_u32_e32 v14, 16, v14
	s_wait_xcnt 0x0
	v_add_nc_u64_e32 v[4:5], 64, v[4:5]
	s_wait_loadcnt 0x0
	ds_store_b32 v13, v15
	v_add_nc_u32_e32 v13, 64, v13
	v_cmp_lt_u32_e64 s1, 0x6f, v14
	s_or_b32 s8, s1, s8
	s_delay_alu instid0(SALU_CYCLE_1)
	s_and_not1_b32 exec_lo, exec_lo, s8
	s_cbranch_execnz .LBB2_8
.LBB2_9:                                ; =>This Loop Header: Depth=1
                                        ;     Child Loop BB2_10 Depth 2
	s_or_b32 exec_lo, exec_lo, s3
	v_mov_b32_e32 v4, 0
	s_mov_b32 s1, 0
	s_wait_dscnt 0x0
	s_barrier_signal -1
	s_barrier_wait -1
.LBB2_10:                               ;   Parent Loop BB2_9 Depth=1
                                        ; =>  This Inner Loop Header: Depth=2
	v_dual_add_nc_u32 v5, s1, v9 :: v_dual_add_nc_u32 v13, s1, v7
	s_add_co_i32 s1, s1, 64
	ds_load_b128 v[14:17], v5
	ds_load_2addr_b32 v[22:23], v13 offset1:1
	ds_load_2addr_b32 v[24:25], v13 offset0:2 offset1:3
	ds_load_b128 v[18:21], v5 offset:16
	ds_load_2addr_b32 v[26:27], v13 offset0:4 offset1:5
	ds_load_2addr_b32 v[28:29], v13 offset0:6 offset1:7
	s_cmp_eq_u32 s1, 0x200
	s_wait_dscnt 0x4
	v_fmac_f32_e32 v4, v22, v14
	s_delay_alu instid0(VALU_DEP_1) | instskip(SKIP_1) | instid1(VALU_DEP_1)
	v_fmac_f32_e32 v4, v23, v15
	s_wait_dscnt 0x3
	v_fmac_f32_e32 v4, v24, v16
	s_delay_alu instid0(VALU_DEP_1)
	v_fmac_f32_e32 v4, v25, v17
	ds_load_b128 v[14:17], v5 offset:32
	ds_load_2addr_b32 v[22:23], v13 offset0:8 offset1:9
	ds_load_2addr_b32 v[24:25], v13 offset0:10 offset1:11
	s_wait_dscnt 0x4
	v_fmac_f32_e32 v4, v26, v18
	s_delay_alu instid0(VALU_DEP_1) | instskip(SKIP_1) | instid1(VALU_DEP_1)
	v_fmac_f32_e32 v4, v27, v19
	s_wait_dscnt 0x3
	v_fmac_f32_e32 v4, v28, v20
	s_delay_alu instid0(VALU_DEP_1)
	v_fmac_f32_e32 v4, v29, v21
	ds_load_b128 v[18:21], v5 offset:48
	ds_load_2addr_b32 v[26:27], v13 offset0:12 offset1:13
	ds_load_2addr_b32 v[28:29], v13 offset0:14 offset1:15
	s_wait_dscnt 0x4
	v_fmac_f32_e32 v4, v22, v14
	s_delay_alu instid0(VALU_DEP_1) | instskip(SKIP_1) | instid1(VALU_DEP_1)
	v_fmac_f32_e32 v4, v23, v15
	s_wait_dscnt 0x3
	v_fmac_f32_e32 v4, v24, v16
	s_delay_alu instid0(VALU_DEP_1) | instskip(SKIP_1) | instid1(VALU_DEP_1)
	v_fmac_f32_e32 v4, v25, v17
	;; [unrolled: 4-line block ×3, first 2 shown]
	s_wait_dscnt 0x0
	v_fmac_f32_e32 v4, v28, v20
	s_delay_alu instid0(VALU_DEP_1)
	v_fmac_f32_e32 v4, v29, v21
	s_cbranch_scc0 .LBB2_10
; %bb.11:                               ;   in Loop: Header=BB2_9 Depth=1
	ds_store_b32 v2, v4
	s_wait_dscnt 0x0
	s_barrier_signal -1
	s_barrier_wait -1
	s_and_saveexec_b32 s3, s0
	s_cbranch_execz .LBB2_13
; %bb.12:                               ;   in Loop: Header=BB2_9 Depth=1
	ds_load_2addr_b32 v[4:5], v8 offset1:16
	ds_load_2addr_b32 v[14:15], v8 offset0:32 offset1:48
	s_or_b32 s8, s2, 1
	ds_load_2addr_b32 v[16:17], v8 offset0:64 offset1:80
	s_wait_dscnt 0x2
	v_cmp_gt_f32_e64 s1, v4, v3
	s_delay_alu instid0(VALU_DEP_1) | instskip(SKIP_1) | instid1(VALU_DEP_2)
	v_cndmask_b32_e64 v3, v3, v4, s1
	v_cndmask_b32_e64 v4, v12, s2, s1
	v_cmp_gt_f32_e64 s1, v5, v3
	s_delay_alu instid0(VALU_DEP_1) | instskip(NEXT) | instid1(VALU_DEP_3)
	v_cndmask_b32_e64 v3, v3, v5, s1
	v_cndmask_b32_e64 v12, v4, s8, s1
	s_or_b32 s8, s2, 2
	ds_load_2addr_b32 v[4:5], v8 offset0:96 offset1:112
	s_wait_dscnt 0x2
	v_cmp_gt_f32_e64 s1, v14, v3
	s_delay_alu instid0(VALU_DEP_1) | instskip(SKIP_2) | instid1(VALU_DEP_2)
	v_cndmask_b32_e64 v3, v3, v14, s1
	v_cndmask_b32_e64 v12, v12, s8, s1
	s_or_b32 s8, s2, 3
	v_cmp_gt_f32_e64 s1, v15, v3
	s_delay_alu instid0(VALU_DEP_1) | instskip(NEXT) | instid1(VALU_DEP_3)
	v_cndmask_b32_e64 v3, v3, v15, s1
	v_cndmask_b32_e64 v14, v12, s8, s1
	s_or_b32 s8, s2, 4
	ds_load_2addr_b32 v[12:13], v8 offset0:128 offset1:144
	s_wait_dscnt 0x2
	v_cmp_gt_f32_e64 s1, v16, v3
	s_delay_alu instid0(VALU_DEP_1) | instskip(SKIP_2) | instid1(VALU_DEP_2)
	v_cndmask_b32_e64 v3, v3, v16, s1
	v_cndmask_b32_e64 v14, v14, s8, s1
	s_or_b32 s8, s2, 5
	;; [unrolled: 12-line block ×5, first 2 shown]
	v_cmp_gt_f32_e64 s1, v15, v3
	s_delay_alu instid0(VALU_DEP_1) | instskip(NEXT) | instid1(VALU_DEP_3)
	v_cndmask_b32_e64 v3, v3, v15, s1
	v_cndmask_b32_e64 v14, v14, s8, s1
	s_or_b32 s8, s2, 12
	s_wait_dscnt 0x1
	s_delay_alu instid0(VALU_DEP_2) | instskip(NEXT) | instid1(VALU_DEP_1)
	v_cmp_gt_f32_e64 s1, v4, v3
	v_cndmask_b32_e64 v3, v3, v4, s1
	v_cndmask_b32_e64 v4, v14, s8, s1
	s_or_b32 s8, s2, 13
	s_delay_alu instid0(VALU_DEP_2) | instskip(NEXT) | instid1(VALU_DEP_1)
	v_cmp_gt_f32_e64 s1, v5, v3
	v_cndmask_b32_e64 v3, v3, v5, s1
	s_delay_alu instid0(VALU_DEP_3) | instskip(SKIP_2) | instid1(VALU_DEP_2)
	v_cndmask_b32_e64 v4, v4, s8, s1
	s_or_b32 s8, s2, 14
	s_wait_dscnt 0x0
	v_cmp_gt_f32_e64 s1, v12, v3
	s_delay_alu instid0(VALU_DEP_1) | instskip(SKIP_2) | instid1(VALU_DEP_2)
	v_cndmask_b32_e64 v3, v3, v12, s1
	v_cndmask_b32_e64 v4, v4, s8, s1
	s_or_b32 s8, s2, 15
	v_cmp_gt_f32_e64 s1, v13, v3
	s_delay_alu instid0(VALU_DEP_1) | instskip(NEXT) | instid1(VALU_DEP_3)
	v_cndmask_b32_e64 v3, v3, v13, s1
	v_cndmask_b32_e64 v12, v4, s8, s1
.LBB2_13:                               ;   in Loop: Header=BB2_9 Depth=1
	s_or_b32 exec_lo, exec_lo, s3
	v_add_nc_u64_e32 v[0:1], 0x2000, v[0:1]
	s_add_co_i32 s1, s2, 16
	s_cmp_gt_u32 s2, 0x3fef
	s_barrier_signal -1
	s_barrier_wait -1
	s_cbranch_scc1 .LBB2_15
; %bb.14:                               ;   in Loop: Header=BB2_9 Depth=1
	s_mov_b32 s2, s1
	s_and_saveexec_b32 s3, vcc_lo
	s_cbranch_execnz .LBB2_7
	s_branch .LBB2_9
.LBB2_15:
	s_and_saveexec_b32 s1, s0
	s_cbranch_execz .LBB2_17
; %bb.16:
	v_add_nc_u32_e32 v0, s10, v6
	s_clause 0x1
	global_store_b32 v0, v3, s[4:5] scale_offset
	global_store_b32 v0, v12, s[6:7] scale_offset
.LBB2_17:
	s_endpgm
	.section	.rodata,"a",@progbits
	.p2align	6, 0x0
	.amdhsa_kernel _Z6Match3PKfS0_PfPi
		.amdhsa_group_segment_fixed_size 17472
		.amdhsa_private_segment_fixed_size 0
		.amdhsa_kernarg_size 32
		.amdhsa_user_sgpr_count 2
		.amdhsa_user_sgpr_dispatch_ptr 0
		.amdhsa_user_sgpr_queue_ptr 0
		.amdhsa_user_sgpr_kernarg_segment_ptr 1
		.amdhsa_user_sgpr_dispatch_id 0
		.amdhsa_user_sgpr_kernarg_preload_length 0
		.amdhsa_user_sgpr_kernarg_preload_offset 0
		.amdhsa_user_sgpr_private_segment_size 0
		.amdhsa_wavefront_size32 1
		.amdhsa_uses_dynamic_stack 0
		.amdhsa_enable_private_segment 0
		.amdhsa_system_sgpr_workgroup_id_x 1
		.amdhsa_system_sgpr_workgroup_id_y 0
		.amdhsa_system_sgpr_workgroup_id_z 0
		.amdhsa_system_sgpr_workgroup_info 0
		.amdhsa_system_vgpr_workitem_id 1
		.amdhsa_next_free_vgpr 30
		.amdhsa_next_free_sgpr 12
		.amdhsa_named_barrier_count 0
		.amdhsa_reserve_vcc 1
		.amdhsa_float_round_mode_32 0
		.amdhsa_float_round_mode_16_64 0
		.amdhsa_float_denorm_mode_32 3
		.amdhsa_float_denorm_mode_16_64 3
		.amdhsa_fp16_overflow 0
		.amdhsa_memory_ordered 1
		.amdhsa_forward_progress 1
		.amdhsa_inst_pref_size 12
		.amdhsa_round_robin_scheduling 0
		.amdhsa_exception_fp_ieee_invalid_op 0
		.amdhsa_exception_fp_denorm_src 0
		.amdhsa_exception_fp_ieee_div_zero 0
		.amdhsa_exception_fp_ieee_overflow 0
		.amdhsa_exception_fp_ieee_underflow 0
		.amdhsa_exception_fp_ieee_inexact 0
		.amdhsa_exception_int_div_zero 0
	.end_amdhsa_kernel
	.text
.Lfunc_end2:
	.size	_Z6Match3PKfS0_PfPi, .Lfunc_end2-_Z6Match3PKfS0_PfPi
                                        ; -- End function
	.set _Z6Match3PKfS0_PfPi.num_vgpr, 30
	.set _Z6Match3PKfS0_PfPi.num_agpr, 0
	.set _Z6Match3PKfS0_PfPi.numbered_sgpr, 12
	.set _Z6Match3PKfS0_PfPi.num_named_barrier, 0
	.set _Z6Match3PKfS0_PfPi.private_seg_size, 0
	.set _Z6Match3PKfS0_PfPi.uses_vcc, 1
	.set _Z6Match3PKfS0_PfPi.uses_flat_scratch, 0
	.set _Z6Match3PKfS0_PfPi.has_dyn_sized_stack, 0
	.set _Z6Match3PKfS0_PfPi.has_recursion, 0
	.set _Z6Match3PKfS0_PfPi.has_indirect_call, 0
	.section	.AMDGPU.csdata,"",@progbits
; Kernel info:
; codeLenInByte = 1488
; TotalNumSgprs: 14
; NumVgprs: 30
; ScratchSize: 0
; MemoryBound: 0
; FloatMode: 240
; IeeeMode: 1
; LDSByteSize: 17472 bytes/workgroup (compile time only)
; SGPRBlocks: 0
; VGPRBlocks: 1
; NumSGPRsForWavesPerEU: 14
; NumVGPRsForWavesPerEU: 30
; NamedBarCnt: 0
; Occupancy: 16
; WaveLimiterHint : 0
; COMPUTE_PGM_RSRC2:SCRATCH_EN: 0
; COMPUTE_PGM_RSRC2:USER_SGPR: 2
; COMPUTE_PGM_RSRC2:TRAP_HANDLER: 0
; COMPUTE_PGM_RSRC2:TGID_X_EN: 1
; COMPUTE_PGM_RSRC2:TGID_Y_EN: 0
; COMPUTE_PGM_RSRC2:TGID_Z_EN: 0
; COMPUTE_PGM_RSRC2:TIDIG_COMP_CNT: 1
	.text
	.protected	_Z6Match4PKfS0_PfPi     ; -- Begin function _Z6Match4PKfS0_PfPi
	.globl	_Z6Match4PKfS0_PfPi
	.p2align	8
	.type	_Z6Match4PKfS0_PfPi,@function
_Z6Match4PKfS0_PfPi:                    ; @_Z6Match4PKfS0_PfPi
; %bb.0:
	s_bfe_u32 s2, ttmp6, 0x4000c
	v_and_b32_e32 v6, 0x3ff, v0
	v_bfe_u32 v0, v0, 10, 10
	s_add_co_i32 s2, s2, 1
	s_and_b32 s3, ttmp6, 15
	s_mul_i32 s2, ttmp9, s2
	s_getreg_b32 s4, hwreg(HW_REG_IB_STS2, 6, 4)
	s_add_co_i32 s5, s3, s2
	v_cmp_lt_u32_e64 s2, 15, v0
	v_cmp_lt_u32_e64 s3, 31, v6
	v_lshlrev_b32_e32 v1, 4, v6
	s_cmp_eq_u32 s4, 0
	v_cmp_gt_u32_e32 vcc_lo, 32, v6
	s_cselect_b32 s8, ttmp9, s5
	s_or_b32 s2, s2, s3
	s_delay_alu instid0(SALU_CYCLE_1) | instskip(NEXT) | instid1(SALU_CYCLE_1)
	s_and_saveexec_b32 s3, s2
	s_xor_b32 s2, exec_lo, s3
; %bb.1:
	v_lshlrev_b32_e32 v1, 4, v6
; %bb.2:
	s_or_saveexec_b32 s3, s2
	s_load_b128 s[4:7], s[0:1], 0x10
	s_lshl_b32 s10, s8, 4
	s_xor_b32 exec_lo, exec_lo, s3
	s_cbranch_execz .LBB3_6
; %bb.3:
	s_load_b64 s[8:9], s[0:1], 0x0
	v_dual_mov_b32 v4, v6 :: v_dual_bitop2_b32 v2, s10, v0 bitop3:0x54
	v_mad_u32_u24 v3, 0x210, v0, v1
	s_mov_b32 s11, 0
	s_delay_alu instid0(VALU_DEP_2)
	v_lshlrev_b32_e32 v2, 5, v2
.LBB3_4:                                ; =>This Inner Loop Header: Depth=1
	s_delay_alu instid0(VALU_DEP_1)
	v_add_nc_u32_e32 v5, v2, v4
	v_cmp_lt_u32_e64 s2, 15, v4
	s_wait_kmcnt 0x0
	global_load_b128 v[8:11], v5, s[8:9] scale_offset
	s_wait_xcnt 0x0
	v_add_nc_u32_e32 v5, 16, v4
	s_or_b32 s11, s2, s11
	s_delay_alu instid0(VALU_DEP_1)
	v_mov_b32_e32 v4, v5
	s_wait_loadcnt 0x0
	ds_store_b128 v3, v[8:11]
	v_add_nc_u32_e32 v3, 0x100, v3
	s_and_not1_b32 exec_lo, exec_lo, s11
	s_cbranch_execnz .LBB3_4
; %bb.5:
	s_or_b32 exec_lo, exec_lo, s11
.LBB3_6:
	s_delay_alu instid0(SALU_CYCLE_1)
	s_or_b32 exec_lo, exec_lo, s3
	s_load_b64 s[2:3], s[0:1], 0x8
	v_dual_lshlrev_b32 v4, 9, v0 :: v_dual_lshlrev_b32 v2, 5, v0
	v_dual_mov_b32 v3, 0 :: v_dual_lshlrev_b32 v5, 6, v0
	v_lshl_add_u32 v8, v6, 2, 0x4100
	s_wait_xcnt 0x0
	v_cmp_eq_u32_e64 s0, 0, v0
	v_add_lshl_u32 v2, v6, v2, 4
	v_add3_u32 v11, v4, v1, 0x2100
	v_mul_u32_u24_e32 v7, 0x210, v6
	v_dual_mov_b32 v12, -1 :: v_dual_add_nc_u32 v9, 0x2100, v4
	v_add_nc_u32_e32 v10, -16, v6
	s_wait_dscnt 0x0
	s_barrier_signal -1
	s_barrier_wait -1
	s_wait_kmcnt 0x0
	v_add_nc_u64_e32 v[0:1], s[2:3], v[2:3]
	v_add_nc_u32_e32 v2, v8, v5
	s_mov_b32 s2, 0
	s_and_saveexec_b32 s1, vcc_lo
	s_cbranch_execz .LBB3_9
.LBB3_7:
	s_delay_alu instid0(VALU_DEP_2)
	v_mov_b64_e32 v[4:5], v[0:1]
	v_dual_mov_b32 v13, v11 :: v_dual_mov_b32 v14, v10
	s_mov_b32 s3, 0
.LBB3_8:                                ; =>This Inner Loop Header: Depth=1
	global_load_b128 v[16:19], v[4:5], off
	v_add_co_u32 v14, s8, v14, 16
	s_wait_xcnt 0x0
	v_add_nc_u64_e32 v[4:5], 0x100, v[4:5]
	s_xor_b32 s8, s8, -1
	s_delay_alu instid0(SALU_CYCLE_1) | instskip(NEXT) | instid1(SALU_CYCLE_1)
	s_and_b32 s8, exec_lo, s8
	s_or_b32 s3, s8, s3
	s_wait_loadcnt 0x0
	ds_store_b128 v13, v[16:19]
	v_add_nc_u32_e32 v13, 0x100, v13
	s_and_not1_b32 exec_lo, exec_lo, s3
	s_cbranch_execnz .LBB3_8
.LBB3_9:                                ; =>This Inner Loop Header: Depth=1
	s_or_b32 exec_lo, exec_lo, s1
	s_wait_dscnt 0x0
	s_barrier_signal -1
	s_barrier_wait -1
	ds_load_b128 v[14:17], v9
	ds_load_b128 v[18:21], v7
	ds_load_b128 v[22:25], v7 offset:16
	ds_load_b128 v[26:29], v9 offset:16
	s_wait_dscnt 0x2
	v_fma_f32 v4, v18, v14, 0
	s_delay_alu instid0(VALU_DEP_1) | instskip(NEXT) | instid1(VALU_DEP_1)
	v_fmac_f32_e32 v4, v19, v15
	v_fmac_f32_e32 v4, v20, v16
	s_delay_alu instid0(VALU_DEP_1) | instskip(SKIP_4) | instid1(VALU_DEP_1)
	v_fmac_f32_e32 v4, v21, v17
	ds_load_b128 v[14:17], v7 offset:32
	ds_load_b128 v[18:21], v9 offset:32
	s_wait_dscnt 0x2
	v_fmac_f32_e32 v4, v22, v26
	v_fmac_f32_e32 v4, v23, v27
	s_delay_alu instid0(VALU_DEP_1) | instskip(NEXT) | instid1(VALU_DEP_1)
	v_fmac_f32_e32 v4, v24, v28
	v_fmac_f32_e32 v4, v25, v29
	ds_load_b128 v[22:25], v7 offset:48
	ds_load_b128 v[26:29], v9 offset:48
	s_wait_dscnt 0x2
	v_fmac_f32_e32 v4, v14, v18
	s_delay_alu instid0(VALU_DEP_1) | instskip(NEXT) | instid1(VALU_DEP_1)
	v_fmac_f32_e32 v4, v15, v19
	v_fmac_f32_e32 v4, v16, v20
	s_delay_alu instid0(VALU_DEP_1) | instskip(SKIP_4) | instid1(VALU_DEP_1)
	v_fmac_f32_e32 v4, v17, v21
	ds_load_b128 v[14:17], v7 offset:64
	ds_load_b128 v[18:21], v9 offset:64
	s_wait_dscnt 0x2
	v_fmac_f32_e32 v4, v22, v26
	v_fmac_f32_e32 v4, v23, v27
	s_delay_alu instid0(VALU_DEP_1) | instskip(NEXT) | instid1(VALU_DEP_1)
	v_fmac_f32_e32 v4, v24, v28
	v_fmac_f32_e32 v4, v25, v29
	ds_load_b128 v[22:25], v7 offset:80
	ds_load_b128 v[26:29], v9 offset:80
	s_wait_dscnt 0x2
	v_fmac_f32_e32 v4, v14, v18
	;; [unrolled: 17-line block ×13, first 2 shown]
	s_delay_alu instid0(VALU_DEP_1) | instskip(NEXT) | instid1(VALU_DEP_1)
	v_fmac_f32_e32 v4, v15, v19
	v_fmac_f32_e32 v4, v16, v20
	s_delay_alu instid0(VALU_DEP_1)
	v_fmac_f32_e32 v4, v17, v21
	ds_load_b128 v[14:17], v7 offset:448
	ds_load_b128 v[18:21], v9 offset:448
	;; [unrolled: 1-line block ×4, first 2 shown]
	s_wait_dscnt 0x4
	v_fmac_f32_e32 v4, v22, v26
	s_delay_alu instid0(VALU_DEP_1) | instskip(NEXT) | instid1(VALU_DEP_1)
	v_fmac_f32_e32 v4, v23, v27
	v_fmac_f32_e32 v4, v24, v28
	s_delay_alu instid0(VALU_DEP_1) | instskip(SKIP_4) | instid1(VALU_DEP_1)
	v_fmac_f32_e32 v4, v25, v29
	ds_load_b128 v[22:25], v7 offset:480
	ds_load_b128 v[26:29], v9 offset:480
	s_wait_dscnt 0x4
	v_fmac_f32_e32 v4, v14, v18
	v_fmac_f32_e32 v4, v15, v19
	s_wait_dscnt 0x2
	v_pk_mul_f32 v[14:15], v[30:31], v[34:35]
	s_delay_alu instid0(VALU_DEP_2) | instskip(NEXT) | instid1(VALU_DEP_1)
	v_fmac_f32_e32 v4, v16, v20
	v_fmac_f32_e32 v4, v17, v21
	s_wait_dscnt 0x0
	v_pk_mul_f32 v[22:23], v[22:23], v[26:27]
	s_delay_alu instid0(VALU_DEP_2) | instskip(SKIP_1) | instid1(VALU_DEP_2)
	v_add_f32_e32 v13, v4, v14
	v_pk_mul_f32 v[4:5], v[32:33], v[36:37]
	v_add_f32_e32 v13, v13, v15
	ds_load_b128 v[14:17], v7 offset:496
	ds_load_b128 v[18:21], v9 offset:496
	v_add_f32_e32 v4, v13, v4
	s_delay_alu instid0(VALU_DEP_1) | instskip(NEXT) | instid1(VALU_DEP_1)
	v_add_f32_e32 v4, v4, v5
	v_add_f32_e32 v13, v4, v22
	v_pk_mul_f32 v[4:5], v[24:25], v[28:29]
	s_delay_alu instid0(VALU_DEP_2) | instskip(SKIP_2) | instid1(VALU_DEP_2)
	v_add_f32_e32 v13, v13, v23
	s_wait_dscnt 0x0
	v_pk_mul_f32 v[14:15], v[14:15], v[18:19]
	v_add_f32_e32 v4, v13, v4
	s_delay_alu instid0(VALU_DEP_1) | instskip(NEXT) | instid1(VALU_DEP_1)
	v_add_f32_e32 v4, v4, v5
	v_add_f32_e32 v13, v4, v14
	v_pk_mul_f32 v[4:5], v[16:17], v[20:21]
	s_delay_alu instid0(VALU_DEP_2) | instskip(NEXT) | instid1(VALU_DEP_1)
	v_add_f32_e32 v13, v13, v15
	v_add_f32_e32 v4, v13, v4
	s_delay_alu instid0(VALU_DEP_1)
	v_add_f32_e32 v4, v4, v5
	ds_store_b32 v2, v4
	s_wait_dscnt 0x0
	s_barrier_signal -1
	s_barrier_wait -1
	s_and_saveexec_b32 s3, s0
	s_cbranch_execz .LBB3_11
; %bb.10:                               ;   in Loop: Header=BB3_9 Depth=1
	ds_load_2addr_b32 v[4:5], v8 offset1:16
	ds_load_2addr_b32 v[14:15], v8 offset0:32 offset1:48
	s_or_b32 s8, s2, 1
	s_wait_dscnt 0x1
	v_cmp_gt_f32_e64 s1, v4, v3
	s_delay_alu instid0(VALU_DEP_1) | instskip(SKIP_1) | instid1(VALU_DEP_2)
	v_cndmask_b32_e64 v3, v3, v4, s1
	v_cndmask_b32_e64 v12, v12, s2, s1
	v_cmp_gt_f32_e64 s1, v5, v3
	s_delay_alu instid0(VALU_DEP_1) | instskip(NEXT) | instid1(VALU_DEP_3)
	v_cndmask_b32_e64 v3, v3, v5, s1
	v_cndmask_b32_e64 v12, v12, s8, s1
	ds_load_2addr_b32 v[4:5], v8 offset0:64 offset1:80
	s_or_b32 s8, s2, 2
	s_wait_dscnt 0x1
	v_cmp_gt_f32_e64 s1, v14, v3
	s_delay_alu instid0(VALU_DEP_1) | instskip(SKIP_2) | instid1(VALU_DEP_2)
	v_cndmask_b32_e64 v3, v3, v14, s1
	v_cndmask_b32_e64 v12, v12, s8, s1
	s_or_b32 s8, s2, 3
	v_cmp_gt_f32_e64 s1, v15, v3
	s_delay_alu instid0(VALU_DEP_1) | instskip(NEXT) | instid1(VALU_DEP_3)
	v_cndmask_b32_e64 v3, v3, v15, s1
	v_cndmask_b32_e64 v14, v12, s8, s1
	ds_load_2addr_b32 v[12:13], v8 offset0:96 offset1:112
	s_or_b32 s8, s2, 4
	s_wait_dscnt 0x1
	v_cmp_gt_f32_e64 s1, v4, v3
	s_delay_alu instid0(VALU_DEP_1) | instskip(SKIP_2) | instid1(VALU_DEP_2)
	v_cndmask_b32_e64 v3, v3, v4, s1
	v_cndmask_b32_e64 v14, v14, s8, s1
	s_or_b32 s8, s2, 5
	;; [unrolled: 12-line block ×6, first 2 shown]
	v_cmp_gt_f32_e64 s1, v5, v3
	s_delay_alu instid0(VALU_DEP_1) | instskip(NEXT) | instid1(VALU_DEP_3)
	v_cndmask_b32_e64 v3, v3, v5, s1
	v_cndmask_b32_e64 v4, v14, s8, s1
	s_or_b32 s8, s2, 14
	s_wait_dscnt 0x0
	s_delay_alu instid0(VALU_DEP_2) | instskip(NEXT) | instid1(VALU_DEP_1)
	v_cmp_gt_f32_e64 s1, v12, v3
	v_cndmask_b32_e64 v3, v3, v12, s1
	v_cndmask_b32_e64 v4, v4, s8, s1
	s_or_b32 s8, s2, 15
	s_delay_alu instid0(VALU_DEP_2) | instskip(NEXT) | instid1(VALU_DEP_1)
	v_cmp_gt_f32_e64 s1, v13, v3
	v_cndmask_b32_e64 v12, v4, s8, s1
	v_cndmask_b32_e64 v3, v3, v13, s1
.LBB3_11:                               ;   in Loop: Header=BB3_9 Depth=1
	s_or_b32 exec_lo, exec_lo, s3
	v_add_nc_u64_e32 v[0:1], 0x2000, v[0:1]
	s_add_co_i32 s1, s2, 16
	s_cmp_gt_u32 s2, 0x3fef
	s_barrier_signal -1
	s_barrier_wait -1
	s_cbranch_scc1 .LBB3_13
; %bb.12:                               ;   in Loop: Header=BB3_9 Depth=1
	s_mov_b32 s2, s1
	s_and_saveexec_b32 s1, vcc_lo
	s_cbranch_execnz .LBB3_7
	s_branch .LBB3_9
.LBB3_13:
	s_and_saveexec_b32 s1, s0
	s_cbranch_execz .LBB3_15
; %bb.14:
	v_add_nc_u32_e32 v0, s10, v6
	s_clause 0x1
	global_store_b32 v0, v3, s[4:5] scale_offset
	global_store_b32 v0, v12, s[6:7] scale_offset
.LBB3_15:
	s_endpgm
	.section	.rodata,"a",@progbits
	.p2align	6, 0x0
	.amdhsa_kernel _Z6Match4PKfS0_PfPi
		.amdhsa_group_segment_fixed_size 17664
		.amdhsa_private_segment_fixed_size 0
		.amdhsa_kernarg_size 32
		.amdhsa_user_sgpr_count 2
		.amdhsa_user_sgpr_dispatch_ptr 0
		.amdhsa_user_sgpr_queue_ptr 0
		.amdhsa_user_sgpr_kernarg_segment_ptr 1
		.amdhsa_user_sgpr_dispatch_id 0
		.amdhsa_user_sgpr_kernarg_preload_length 0
		.amdhsa_user_sgpr_kernarg_preload_offset 0
		.amdhsa_user_sgpr_private_segment_size 0
		.amdhsa_wavefront_size32 1
		.amdhsa_uses_dynamic_stack 0
		.amdhsa_enable_private_segment 0
		.amdhsa_system_sgpr_workgroup_id_x 1
		.amdhsa_system_sgpr_workgroup_id_y 0
		.amdhsa_system_sgpr_workgroup_id_z 0
		.amdhsa_system_sgpr_workgroup_info 0
		.amdhsa_system_vgpr_workitem_id 1
		.amdhsa_next_free_vgpr 38
		.amdhsa_next_free_sgpr 12
		.amdhsa_named_barrier_count 0
		.amdhsa_reserve_vcc 1
		.amdhsa_float_round_mode_32 0
		.amdhsa_float_round_mode_16_64 0
		.amdhsa_float_denorm_mode_32 3
		.amdhsa_float_denorm_mode_16_64 3
		.amdhsa_fp16_overflow 0
		.amdhsa_memory_ordered 1
		.amdhsa_forward_progress 1
		.amdhsa_inst_pref_size 21
		.amdhsa_round_robin_scheduling 0
		.amdhsa_exception_fp_ieee_invalid_op 0
		.amdhsa_exception_fp_denorm_src 0
		.amdhsa_exception_fp_ieee_div_zero 0
		.amdhsa_exception_fp_ieee_overflow 0
		.amdhsa_exception_fp_ieee_underflow 0
		.amdhsa_exception_fp_ieee_inexact 0
		.amdhsa_exception_int_div_zero 0
	.end_amdhsa_kernel
	.text
.Lfunc_end3:
	.size	_Z6Match4PKfS0_PfPi, .Lfunc_end3-_Z6Match4PKfS0_PfPi
                                        ; -- End function
	.set _Z6Match4PKfS0_PfPi.num_vgpr, 38
	.set _Z6Match4PKfS0_PfPi.num_agpr, 0
	.set _Z6Match4PKfS0_PfPi.numbered_sgpr, 12
	.set _Z6Match4PKfS0_PfPi.num_named_barrier, 0
	.set _Z6Match4PKfS0_PfPi.private_seg_size, 0
	.set _Z6Match4PKfS0_PfPi.uses_vcc, 1
	.set _Z6Match4PKfS0_PfPi.uses_flat_scratch, 0
	.set _Z6Match4PKfS0_PfPi.has_dyn_sized_stack, 0
	.set _Z6Match4PKfS0_PfPi.has_recursion, 0
	.set _Z6Match4PKfS0_PfPi.has_indirect_call, 0
	.section	.AMDGPU.csdata,"",@progbits
; Kernel info:
; codeLenInByte = 2636
; TotalNumSgprs: 14
; NumVgprs: 38
; ScratchSize: 0
; MemoryBound: 0
; FloatMode: 240
; IeeeMode: 1
; LDSByteSize: 17664 bytes/workgroup (compile time only)
; SGPRBlocks: 0
; VGPRBlocks: 2
; NumSGPRsForWavesPerEU: 14
; NumVGPRsForWavesPerEU: 38
; NamedBarCnt: 0
; Occupancy: 16
; WaveLimiterHint : 0
; COMPUTE_PGM_RSRC2:SCRATCH_EN: 0
; COMPUTE_PGM_RSRC2:USER_SGPR: 2
; COMPUTE_PGM_RSRC2:TRAP_HANDLER: 0
; COMPUTE_PGM_RSRC2:TGID_X_EN: 1
; COMPUTE_PGM_RSRC2:TGID_Y_EN: 0
; COMPUTE_PGM_RSRC2:TGID_Z_EN: 0
; COMPUTE_PGM_RSRC2:TIDIG_COMP_CNT: 1
	.text
	.protected	_Z6Match5PKfS0_PfPi     ; -- Begin function _Z6Match5PKfS0_PfPi
	.globl	_Z6Match5PKfS0_PfPi
	.p2align	8
	.type	_Z6Match5PKfS0_PfPi,@function
_Z6Match5PKfS0_PfPi:                    ; @_Z6Match5PKfS0_PfPi
; %bb.0:
	s_bfe_u32 s2, ttmp6, 0x4000c
	v_and_b32_e32 v28, 0x3ff, v0
	v_bfe_u32 v0, v0, 10, 10
	s_add_co_i32 s2, s2, 1
	s_and_b32 s3, ttmp6, 15
	s_mul_i32 s2, ttmp9, s2
	s_getreg_b32 s4, hwreg(HW_REG_IB_STS2, 6, 4)
	s_add_co_i32 s5, s3, s2
	v_cmp_lt_u32_e64 s2, 15, v0
	v_cmp_lt_u32_e64 s3, 31, v28
	v_lshlrev_b32_e32 v1, 4, v28
	s_cmp_eq_u32 s4, 0
	v_cmp_gt_u32_e32 vcc_lo, 32, v28
	s_cselect_b32 s8, ttmp9, s5
	s_or_b32 s2, s2, s3
	s_delay_alu instid0(SALU_CYCLE_1) | instskip(NEXT) | instid1(SALU_CYCLE_1)
	s_and_saveexec_b32 s3, s2
	s_xor_b32 s2, exec_lo, s3
; %bb.1:
	v_lshlrev_b32_e32 v1, 4, v28
; %bb.2:
	s_or_saveexec_b32 s3, s2
	s_load_b128 s[4:7], s[0:1], 0x10
	s_lshl_b32 s10, s8, 4
	s_xor_b32 exec_lo, exec_lo, s3
	s_cbranch_execz .LBB4_6
; %bb.3:
	s_load_b64 s[8:9], s[0:1], 0x0
	v_dual_mov_b32 v4, v28 :: v_dual_bitop2_b32 v2, s10, v0 bitop3:0x54
	v_mad_u32_u24 v3, 0x210, v0, v1
	s_mov_b32 s11, 0
	s_delay_alu instid0(VALU_DEP_2)
	v_lshlrev_b32_e32 v2, 5, v2
.LBB4_4:                                ; =>This Inner Loop Header: Depth=1
	s_delay_alu instid0(VALU_DEP_1)
	v_add_nc_u32_e32 v5, v2, v4
	v_cmp_lt_u32_e64 s2, 15, v4
	s_wait_kmcnt 0x0
	global_load_b128 v[6:9], v5, s[8:9] scale_offset
	s_wait_xcnt 0x0
	v_add_nc_u32_e32 v5, 16, v4
	s_or_b32 s11, s2, s11
	s_delay_alu instid0(VALU_DEP_1)
	v_mov_b32_e32 v4, v5
	s_wait_loadcnt 0x0
	ds_store_b128 v3, v[6:9]
	v_add_nc_u32_e32 v3, 0x100, v3
	s_and_not1_b32 exec_lo, exec_lo, s11
	s_cbranch_execnz .LBB4_4
; %bb.5:
	s_or_b32 exec_lo, exec_lo, s11
.LBB4_6:
	s_delay_alu instid0(SALU_CYCLE_1)
	s_or_b32 exec_lo, exec_lo, s3
	s_load_b64 s[2:3], s[0:1], 0x8
	v_dual_lshlrev_b32 v2, 5, v0 :: v_dual_lshlrev_b32 v3, 9, v0
	v_mov_b32_e32 v23, 0
	v_lshl_add_u32 v30, v28, 2, 0x4100
	s_wait_xcnt 0x0
	v_cmp_gt_u32_e64 s1, 4, v0
	v_add_lshl_u32 v22, v28, v2, 4
	v_lshlrev_b32_e32 v2, 8, v0
	v_cmp_eq_u32_e64 s0, 0, v0
	v_mul_u32_u24_e32 v29, 0x210, v28
	v_dual_mov_b32 v34, -1 :: v_dual_add_nc_u32 v31, -16, v28
	v_add3_u32 v32, v3, v1, 0x2100
	v_add_nc_u32_e32 v33, v30, v2
	s_wait_dscnt 0x0
	s_barrier_signal -1
	s_barrier_wait -1
	s_wait_kmcnt 0x0
	v_add_nc_u64_e32 v[20:21], s[2:3], v[22:23]
	v_lshl_add_u32 v22, v0, 11, 0x2100
	s_mov_b32 s3, 0
	s_and_saveexec_b32 s2, vcc_lo
	s_cbranch_execz .LBB4_9
.LBB4_7:
	s_delay_alu instid0(VALU_DEP_2)
	v_mov_b64_e32 v[0:1], v[20:21]
	v_dual_mov_b32 v2, v32 :: v_dual_mov_b32 v3, v31
	s_mov_b32 s8, 0
.LBB4_8:                                ; =>This Inner Loop Header: Depth=1
	global_load_b128 v[4:7], v[0:1], off
	v_add_co_u32 v3, s9, v3, 16
	s_wait_xcnt 0x0
	v_add_nc_u64_e32 v[0:1], 0x100, v[0:1]
	s_xor_b32 s9, s9, -1
	s_delay_alu instid0(SALU_CYCLE_1) | instskip(NEXT) | instid1(SALU_CYCLE_1)
	s_and_b32 s9, exec_lo, s9
	s_or_b32 s8, s9, s8
	s_wait_loadcnt 0x0
	ds_store_b128 v2, v[4:7]
	v_add_nc_u32_e32 v2, 0x100, v2
	s_and_not1_b32 exec_lo, exec_lo, s8
	s_cbranch_execnz .LBB4_8
.LBB4_9:                                ; =>This Loop Header: Depth=1
                                        ;     Child Loop BB4_11 Depth 2
	s_or_b32 exec_lo, exec_lo, s2
	s_wait_dscnt 0x0
	s_barrier_signal -1
	s_barrier_wait -1
	s_and_saveexec_b32 s2, s1
	s_cbranch_execz .LBB4_13
; %bb.10:                               ;   in Loop: Header=BB4_9 Depth=1
	v_mov_b32_e32 v24, 0
	s_mov_b32 s8, 0
	s_delay_alu instid0(VALU_DEP_1)
	v_dual_mov_b32 v25, v24 :: v_dual_mov_b32 v26, v24
	v_mov_b32_e32 v27, v24
.LBB4_11:                               ;   Parent Loop BB4_9 Depth=1
                                        ; =>  This Inner Loop Header: Depth=2
	v_dual_add_nc_u32 v0, s8, v29 :: v_dual_add_nc_u32 v35, s8, v22
	s_add_co_i32 s8, s8, 64
	ds_load_b128 v[36:39], v35 offset:1024
	ds_load_b128 v[40:43], v0
	ds_load_b128 v[16:19], v0 offset:16
	ds_load_b128 v[8:11], v0 offset:32
	;; [unrolled: 1-line block ×4, first 2 shown]
	ds_load_b128 v[48:51], v35
	ds_load_b128 v[52:55], v35 offset:16
	ds_load_b128 v[12:15], v35 offset:32
	;; [unrolled: 1-line block ×4, first 2 shown]
	s_cmp_eq_u32 s8, 0x200
	s_wait_dscnt 0x9
	v_dual_mul_f32 v36, v40, v36 :: v_dual_mul_f32 v60, v41, v37
	s_wait_dscnt 0x4
	v_mov_b32_e32 v62, v48
	v_pk_mul_f32 v[44:45], v[40:41], v[44:45]
	s_wait_dscnt 0x0
	v_dual_mov_b32 v63, v56 :: v_dual_mov_b32 v56, v49
	s_delay_alu instid0(VALU_DEP_2) | instskip(NEXT) | instid1(VALU_DEP_2)
	v_mov_b32_e32 v37, v44
	v_pk_fma_f32 v[24:25], v[40:41], v[62:63], v[24:25] op_sel_hi:[0,1,1]
	s_delay_alu instid0(VALU_DEP_2) | instskip(NEXT) | instid1(VALU_DEP_2)
	v_pk_add_f32 v[26:27], v[26:27], v[36:37]
	v_pk_fma_f32 v[24:25], v[40:41], v[56:57], v[24:25] op_sel:[1,0,0]
	v_dual_mov_b32 v40, v50 :: v_dual_mov_b32 v41, v58
	v_dual_mov_b32 v58, v51 :: v_dual_mov_b32 v50, v52
	s_delay_alu instid0(VALU_DEP_2) | instskip(SKIP_1) | instid1(VALU_DEP_1)
	v_pk_fma_f32 v[24:25], v[42:43], v[40:41], v[24:25] op_sel_hi:[0,1,1]
	v_mov_b32_e32 v40, v43
	v_pk_fma_f32 v[48:49], v[40:41], v[58:59], v[24:25] op_sel_hi:[0,1,1]
	v_dual_mul_f32 v24, v42, v38 :: v_dual_mul_f32 v38, v43, v39
	v_pk_mul_f32 v[40:41], v[42:43], v[46:47]
	s_delay_alu instid0(VALU_DEP_1) | instskip(NEXT) | instid1(VALU_DEP_1)
	v_dual_mov_b32 v61, v45 :: v_dual_mov_b32 v25, v40
	v_pk_add_f32 v[26:27], v[26:27], v[60:61]
	s_delay_alu instid0(VALU_DEP_3) | instskip(SKIP_2) | instid1(VALU_DEP_1)
	v_mov_b32_e32 v39, v41
	ds_load_b128 v[40:43], v35 offset:528
	v_pk_add_f32 v[24:25], v[26:27], v[24:25]
	v_pk_add_f32 v[44:45], v[24:25], v[38:39]
	ds_load_b128 v[24:27], v35 offset:1040
	ds_load_b128 v[36:39], v35 offset:1552
	s_wait_dscnt 0x2
	v_dual_mov_b32 v51, v40 :: v_dual_mov_b32 v40, v53
	s_delay_alu instid0(VALU_DEP_1)
	v_pk_fma_f32 v[48:49], v[16:17], v[50:51], v[48:49] op_sel_hi:[0,1,1]
	s_wait_dscnt 0x1
	v_dual_mul_f32 v46, v17, v25 :: v_dual_mul_f32 v24, v16, v24
	s_wait_dscnt 0x0
	v_pk_mul_f32 v[36:37], v[16:17], v[36:37]
	v_pk_fma_f32 v[16:17], v[16:17], v[40:41], v[48:49] op_sel:[1,0,0]
	v_dual_mov_b32 v40, v54 :: v_dual_mov_b32 v41, v42
	s_delay_alu instid0(VALU_DEP_3) | instskip(NEXT) | instid1(VALU_DEP_4)
	v_dual_mov_b32 v42, v55 :: v_dual_mov_b32 v25, v36
	v_mov_b32_e32 v47, v37
	s_delay_alu instid0(VALU_DEP_3) | instskip(SKIP_1) | instid1(VALU_DEP_4)
	v_pk_fma_f32 v[16:17], v[18:19], v[40:41], v[16:17] op_sel_hi:[0,1,1]
	v_mov_b32_e32 v40, v19
	v_pk_add_f32 v[24:25], v[44:45], v[24:25]
	s_delay_alu instid0(VALU_DEP_2) | instskip(SKIP_2) | instid1(VALU_DEP_4)
	v_pk_fma_f32 v[40:41], v[40:41], v[42:43], v[16:17] op_sel_hi:[0,1,1]
	v_dual_mul_f32 v16, v18, v26 :: v_dual_mul_f32 v26, v19, v27
	v_pk_mul_f32 v[18:19], v[18:19], v[38:39]
	v_pk_add_f32 v[24:25], v[24:25], v[46:47]
	ds_load_b128 v[36:39], v35 offset:544
	v_dual_mov_b32 v46, v12 :: v_dual_mov_b32 v12, v14
	v_dual_mov_b32 v17, v18 :: v_dual_mov_b32 v27, v19
	s_delay_alu instid0(VALU_DEP_1) | instskip(NEXT) | instid1(VALU_DEP_1)
	v_pk_add_f32 v[16:17], v[24:25], v[16:17]
	v_pk_add_f32 v[42:43], v[16:17], v[26:27]
	ds_load_b128 v[16:19], v35 offset:1056
	ds_load_b128 v[24:27], v35 offset:1568
	s_wait_dscnt 0x2
	v_dual_mov_b32 v47, v36 :: v_dual_mov_b32 v36, v13
	v_dual_mov_b32 v13, v38 :: v_dual_mov_b32 v38, v15
	s_delay_alu instid0(VALU_DEP_2)
	v_pk_fma_f32 v[40:41], v[8:9], v[46:47], v[40:41] op_sel_hi:[0,1,1]
	s_wait_dscnt 0x1
	v_dual_mul_f32 v16, v8, v16 :: v_dual_mul_f32 v44, v9, v17
	s_wait_dscnt 0x0
	v_pk_mul_f32 v[24:25], v[8:9], v[24:25]
	v_pk_fma_f32 v[8:9], v[8:9], v[36:37], v[40:41] op_sel:[1,0,0]
	s_delay_alu instid0(VALU_DEP_2) | instskip(NEXT) | instid1(VALU_DEP_2)
	v_mov_b32_e32 v17, v24
	v_pk_fma_f32 v[8:9], v[10:11], v[12:13], v[8:9] op_sel_hi:[0,1,1]
	v_dual_mov_b32 v12, v11 :: v_dual_mov_b32 v24, v4
	s_delay_alu instid0(VALU_DEP_3) | instskip(NEXT) | instid1(VALU_DEP_2)
	v_pk_add_f32 v[14:15], v[42:43], v[16:17]
	v_pk_fma_f32 v[36:37], v[12:13], v[38:39], v[8:9] op_sel_hi:[0,1,1]
	v_dual_mul_f32 v12, v11, v19 :: v_dual_mul_f32 v8, v10, v18
	v_pk_mul_f32 v[10:11], v[10:11], v[26:27]
	v_mov_b32_e32 v45, v25
	ds_load_b128 v[16:19], v35 offset:560
	v_dual_mov_b32 v4, v6 :: v_dual_mov_b32 v9, v10
	v_pk_add_f32 v[14:15], v[14:15], v[44:45]
	v_mov_b32_e32 v13, v11
	s_delay_alu instid0(VALU_DEP_2) | instskip(NEXT) | instid1(VALU_DEP_1)
	v_pk_add_f32 v[8:9], v[14:15], v[8:9]
	v_pk_add_f32 v[26:27], v[8:9], v[12:13]
	ds_load_b128 v[8:11], v35 offset:1072
	ds_load_b128 v[12:15], v35 offset:1584
	s_wait_dscnt 0x2
	v_dual_mov_b32 v25, v16 :: v_dual_mov_b32 v16, v5
	v_dual_mov_b32 v5, v18 :: v_dual_mov_b32 v18, v7
	s_delay_alu instid0(VALU_DEP_2)
	v_pk_fma_f32 v[24:25], v[0:1], v[24:25], v[36:37] op_sel_hi:[0,1,1]
	s_wait_dscnt 0x1
	v_dual_mul_f32 v38, v1, v9 :: v_dual_mul_f32 v8, v0, v8
	s_wait_dscnt 0x0
	v_pk_mul_f32 v[12:13], v[0:1], v[12:13]
	v_pk_fma_f32 v[0:1], v[0:1], v[16:17], v[24:25] op_sel:[1,0,0]
	s_delay_alu instid0(VALU_DEP_2) | instskip(NEXT) | instid1(VALU_DEP_2)
	v_dual_mov_b32 v9, v12 :: v_dual_mov_b32 v39, v13
	v_pk_fma_f32 v[0:1], v[2:3], v[4:5], v[0:1] op_sel_hi:[0,1,1]
	v_mov_b32_e32 v4, v3
	s_delay_alu instid0(VALU_DEP_3) | instskip(NEXT) | instid1(VALU_DEP_2)
	v_pk_add_f32 v[6:7], v[26:27], v[8:9]
	v_pk_fma_f32 v[24:25], v[4:5], v[18:19], v[0:1] op_sel_hi:[0,1,1]
	v_dual_mul_f32 v0, v2, v10 :: v_dual_mul_f32 v4, v3, v11
	v_pk_mul_f32 v[2:3], v[2:3], v[14:15]
	s_delay_alu instid0(VALU_DEP_4) | instskip(NEXT) | instid1(VALU_DEP_2)
	v_pk_add_f32 v[6:7], v[6:7], v[38:39]
	v_dual_mov_b32 v1, v2 :: v_dual_mov_b32 v5, v3
	s_delay_alu instid0(VALU_DEP_1) | instskip(NEXT) | instid1(VALU_DEP_1)
	v_pk_add_f32 v[0:1], v[6:7], v[0:1]
	v_pk_add_f32 v[26:27], v[0:1], v[4:5]
	s_cbranch_scc0 .LBB4_11
; %bb.12:                               ;   in Loop: Header=BB4_9 Depth=1
	ds_store_2addr_b32 v33, v24, v25 offset1:16
	ds_store_2addr_b32 v33, v26, v27 offset0:32 offset1:48
.LBB4_13:                               ;   in Loop: Header=BB4_9 Depth=1
	s_or_b32 exec_lo, exec_lo, s2
	s_wait_dscnt 0x0
	s_barrier_signal -1
	s_barrier_wait -1
	s_and_saveexec_b32 s8, s0
	s_cbranch_execz .LBB4_15
; %bb.14:                               ;   in Loop: Header=BB4_9 Depth=1
	ds_load_2addr_b32 v[0:1], v30 offset1:16
	ds_load_2addr_b32 v[2:3], v30 offset0:32 offset1:48
	s_or_b32 s9, s3, 1
	s_wait_dscnt 0x1
	v_cmp_gt_f32_e64 s2, v0, v23
	s_delay_alu instid0(VALU_DEP_1) | instskip(SKIP_1) | instid1(VALU_DEP_2)
	v_cndmask_b32_e64 v0, v23, v0, s2
	v_cndmask_b32_e64 v4, v34, s3, s2
	v_cmp_gt_f32_e64 s2, v1, v0
	s_delay_alu instid0(VALU_DEP_1) | instskip(NEXT) | instid1(VALU_DEP_3)
	v_cndmask_b32_e64 v5, v0, v1, s2
	v_cndmask_b32_e64 v4, v4, s9, s2
	ds_load_2addr_b32 v[0:1], v30 offset0:64 offset1:80
	s_or_b32 s9, s3, 2
	s_wait_dscnt 0x1
	v_cmp_gt_f32_e64 s2, v2, v5
	s_delay_alu instid0(VALU_DEP_1) | instskip(SKIP_2) | instid1(VALU_DEP_2)
	v_cndmask_b32_e64 v2, v5, v2, s2
	v_cndmask_b32_e64 v4, v4, s9, s2
	s_or_b32 s9, s3, 3
	v_cmp_gt_f32_e64 s2, v3, v2
	s_delay_alu instid0(VALU_DEP_1) | instskip(NEXT) | instid1(VALU_DEP_3)
	v_cndmask_b32_e64 v5, v2, v3, s2
	v_cndmask_b32_e64 v4, v4, s9, s2
	ds_load_2addr_b32 v[2:3], v30 offset0:96 offset1:112
	s_or_b32 s9, s3, 4
	s_wait_dscnt 0x1
	v_cmp_gt_f32_e64 s2, v0, v5
	s_delay_alu instid0(VALU_DEP_1) | instskip(SKIP_2) | instid1(VALU_DEP_2)
	v_cndmask_b32_e64 v0, v5, v0, s2
	v_cndmask_b32_e64 v4, v4, s9, s2
	s_or_b32 s9, s3, 5
	;; [unrolled: 12-line block ×6, first 2 shown]
	v_cmp_gt_f32_e64 s2, v1, v0
	s_delay_alu instid0(VALU_DEP_1) | instskip(NEXT) | instid1(VALU_DEP_3)
	v_cndmask_b32_e64 v0, v0, v1, s2
	v_cndmask_b32_e64 v4, v4, s9, s2
	s_or_b32 s9, s3, 14
	s_wait_dscnt 0x0
	s_delay_alu instid0(VALU_DEP_2) | instskip(NEXT) | instid1(VALU_DEP_1)
	v_cmp_gt_f32_e64 s2, v2, v0
	v_cndmask_b32_e64 v0, v0, v2, s2
	v_cndmask_b32_e64 v1, v4, s9, s2
	s_or_b32 s9, s3, 15
	s_delay_alu instid0(VALU_DEP_2) | instskip(NEXT) | instid1(VALU_DEP_1)
	v_cmp_gt_f32_e64 s2, v3, v0
	v_cndmask_b32_e64 v34, v1, s9, s2
	v_cndmask_b32_e64 v23, v0, v3, s2
.LBB4_15:                               ;   in Loop: Header=BB4_9 Depth=1
	s_or_b32 exec_lo, exec_lo, s8
	v_add_nc_u64_e32 v[20:21], 0x2000, v[20:21]
	s_add_co_i32 s2, s3, 16
	s_cmp_gt_u32 s3, 0x3fef
	s_barrier_signal -1
	s_barrier_wait -1
	s_cbranch_scc1 .LBB4_17
; %bb.16:                               ;   in Loop: Header=BB4_9 Depth=1
	s_mov_b32 s3, s2
	s_and_saveexec_b32 s2, vcc_lo
	s_cbranch_execnz .LBB4_7
	s_branch .LBB4_9
.LBB4_17:
	s_and_saveexec_b32 s1, s0
	s_cbranch_execz .LBB4_19
; %bb.18:
	v_add_nc_u32_e32 v0, s10, v28
	s_clause 0x1
	global_store_b32 v0, v23, s[4:5] scale_offset
	global_store_b32 v0, v34, s[6:7] scale_offset
.LBB4_19:
	s_endpgm
	.section	.rodata,"a",@progbits
	.p2align	6, 0x0
	.amdhsa_kernel _Z6Match5PKfS0_PfPi
		.amdhsa_group_segment_fixed_size 17664
		.amdhsa_private_segment_fixed_size 0
		.amdhsa_kernarg_size 32
		.amdhsa_user_sgpr_count 2
		.amdhsa_user_sgpr_dispatch_ptr 0
		.amdhsa_user_sgpr_queue_ptr 0
		.amdhsa_user_sgpr_kernarg_segment_ptr 1
		.amdhsa_user_sgpr_dispatch_id 0
		.amdhsa_user_sgpr_kernarg_preload_length 0
		.amdhsa_user_sgpr_kernarg_preload_offset 0
		.amdhsa_user_sgpr_private_segment_size 0
		.amdhsa_wavefront_size32 1
		.amdhsa_uses_dynamic_stack 0
		.amdhsa_enable_private_segment 0
		.amdhsa_system_sgpr_workgroup_id_x 1
		.amdhsa_system_sgpr_workgroup_id_y 0
		.amdhsa_system_sgpr_workgroup_id_z 0
		.amdhsa_system_sgpr_workgroup_info 0
		.amdhsa_system_vgpr_workitem_id 1
		.amdhsa_next_free_vgpr 64
		.amdhsa_next_free_sgpr 12
		.amdhsa_named_barrier_count 0
		.amdhsa_reserve_vcc 1
		.amdhsa_float_round_mode_32 0
		.amdhsa_float_round_mode_16_64 0
		.amdhsa_float_denorm_mode_32 3
		.amdhsa_float_denorm_mode_16_64 3
		.amdhsa_fp16_overflow 0
		.amdhsa_memory_ordered 1
		.amdhsa_forward_progress 1
		.amdhsa_inst_pref_size 18
		.amdhsa_round_robin_scheduling 0
		.amdhsa_exception_fp_ieee_invalid_op 0
		.amdhsa_exception_fp_denorm_src 0
		.amdhsa_exception_fp_ieee_div_zero 0
		.amdhsa_exception_fp_ieee_overflow 0
		.amdhsa_exception_fp_ieee_underflow 0
		.amdhsa_exception_fp_ieee_inexact 0
		.amdhsa_exception_int_div_zero 0
	.end_amdhsa_kernel
	.text
.Lfunc_end4:
	.size	_Z6Match5PKfS0_PfPi, .Lfunc_end4-_Z6Match5PKfS0_PfPi
                                        ; -- End function
	.set _Z6Match5PKfS0_PfPi.num_vgpr, 64
	.set _Z6Match5PKfS0_PfPi.num_agpr, 0
	.set _Z6Match5PKfS0_PfPi.numbered_sgpr, 12
	.set _Z6Match5PKfS0_PfPi.num_named_barrier, 0
	.set _Z6Match5PKfS0_PfPi.private_seg_size, 0
	.set _Z6Match5PKfS0_PfPi.uses_vcc, 1
	.set _Z6Match5PKfS0_PfPi.uses_flat_scratch, 0
	.set _Z6Match5PKfS0_PfPi.has_dyn_sized_stack, 0
	.set _Z6Match5PKfS0_PfPi.has_recursion, 0
	.set _Z6Match5PKfS0_PfPi.has_indirect_call, 0
	.section	.AMDGPU.csdata,"",@progbits
; Kernel info:
; codeLenInByte = 2216
; TotalNumSgprs: 14
; NumVgprs: 64
; ScratchSize: 0
; MemoryBound: 0
; FloatMode: 240
; IeeeMode: 1
; LDSByteSize: 17664 bytes/workgroup (compile time only)
; SGPRBlocks: 0
; VGPRBlocks: 3
; NumSGPRsForWavesPerEU: 14
; NumVGPRsForWavesPerEU: 64
; NamedBarCnt: 0
; Occupancy: 16
; WaveLimiterHint : 0
; COMPUTE_PGM_RSRC2:SCRATCH_EN: 0
; COMPUTE_PGM_RSRC2:USER_SGPR: 2
; COMPUTE_PGM_RSRC2:TRAP_HANDLER: 0
; COMPUTE_PGM_RSRC2:TGID_X_EN: 1
; COMPUTE_PGM_RSRC2:TGID_Y_EN: 0
; COMPUTE_PGM_RSRC2:TGID_Z_EN: 0
; COMPUTE_PGM_RSRC2:TIDIG_COMP_CNT: 1
	.text
	.protected	_Z6Match6PKfS0_PfPi     ; -- Begin function _Z6Match6PKfS0_PfPi
	.globl	_Z6Match6PKfS0_PfPi
	.p2align	8
	.type	_Z6Match6PKfS0_PfPi,@function
_Z6Match6PKfS0_PfPi:                    ; @_Z6Match6PKfS0_PfPi
; %bb.0:
	s_bfe_u32 s2, ttmp6, 0x4000c
	v_and_b32_e32 v28, 0x3ff, v0
	v_bfe_u32 v29, v0, 10, 10
	s_add_co_i32 s2, s2, 1
	s_and_b32 s3, ttmp6, 15
	s_mul_i32 s2, ttmp9, s2
	s_getreg_b32 s4, hwreg(HW_REG_IB_STS2, 6, 4)
	s_add_co_i32 s5, s3, s2
	v_cmp_lt_u32_e64 s2, 15, v29
	v_cmp_lt_u32_e64 s3, 31, v28
	v_lshlrev_b32_e32 v0, 4, v28
	s_cmp_eq_u32 s4, 0
	v_cmp_gt_u32_e32 vcc_lo, 32, v28
	s_cselect_b32 s8, ttmp9, s5
	s_or_b32 s2, s2, s3
	s_delay_alu instid0(SALU_CYCLE_1) | instskip(NEXT) | instid1(SALU_CYCLE_1)
	s_and_saveexec_b32 s3, s2
	s_xor_b32 s2, exec_lo, s3
; %bb.1:
	v_lshlrev_b32_e32 v0, 4, v28
; %bb.2:
	s_or_saveexec_b32 s3, s2
	s_load_b128 s[4:7], s[0:1], 0x10
	s_lshl_b32 s10, s8, 4
	s_xor_b32 exec_lo, exec_lo, s3
	s_cbranch_execz .LBB5_6
; %bb.3:
	s_load_b64 s[8:9], s[0:1], 0x0
	v_dual_mov_b32 v3, v28 :: v_dual_bitop2_b32 v1, s10, v29 bitop3:0x54
	v_mad_u32_u24 v2, 0x210, v29, v0
	s_mov_b32 s11, 0
	s_delay_alu instid0(VALU_DEP_2)
	v_lshlrev_b32_e32 v1, 5, v1
.LBB5_4:                                ; =>This Inner Loop Header: Depth=1
	s_delay_alu instid0(VALU_DEP_1)
	v_dual_add_nc_u32 v4, v1, v3 :: v_dual_add_nc_u32 v8, 16, v3
	v_cmp_lt_u32_e64 s2, 15, v3
	s_wait_kmcnt 0x0
	global_load_b128 v[4:7], v4, s[8:9] scale_offset
	v_mov_b32_e32 v3, v8
	s_or_b32 s11, s2, s11
	s_wait_loadcnt 0x0
	ds_store_b128 v2, v[4:7]
	v_add_nc_u32_e32 v2, 0x100, v2
	s_wait_xcnt 0x0
	s_and_not1_b32 exec_lo, exec_lo, s11
	s_cbranch_execnz .LBB5_4
; %bb.5:
	s_or_b32 exec_lo, exec_lo, s11
.LBB5_6:
	s_delay_alu instid0(SALU_CYCLE_1)
	s_or_b32 exec_lo, exec_lo, s3
	s_load_b64 s[2:3], s[0:1], 0x8
	v_dual_lshlrev_b32 v1, 5, v29 :: v_dual_lshlrev_b32 v2, 9, v29
	v_dual_mov_b32 v21, 0 :: v_dual_lshlrev_b32 v31, 2, v29
	s_wait_xcnt 0x0
	v_cmp_gt_u32_e64 s0, 4, v29
	s_delay_alu instid0(VALU_DEP_3)
	v_add_lshl_u32 v20, v28, v1, 4
	v_mul_u32_u24_e32 v30, 0x210, v28
	v_dual_add_nc_u32 v32, -16, v28 :: v_dual_mov_b32 v34, -1
	v_add3_u32 v33, v2, v0, 0x2100
	s_wait_kmcnt 0x0
	v_add_nc_u64_e32 v[22:23], s[2:3], v[20:21]
	v_lshl_add_u32 v20, v29, 11, 0x2100
	s_mov_b32 s2, 0
	s_and_saveexec_b32 s1, vcc_lo
	s_cbranch_execz .LBB5_9
.LBB5_7:
	s_delay_alu instid0(VALU_DEP_2)
	v_mov_b64_e32 v[0:1], v[22:23]
	v_dual_mov_b32 v2, v33 :: v_dual_mov_b32 v3, v32
	s_mov_b32 s3, 0
.LBB5_8:                                ; =>This Inner Loop Header: Depth=1
	global_load_b128 v[4:7], v[0:1], off
	v_add_co_u32 v3, s8, v3, 16
	s_wait_xcnt 0x0
	v_add_nc_u64_e32 v[0:1], 0x100, v[0:1]
	s_xor_b32 s8, s8, -1
	s_delay_alu instid0(SALU_CYCLE_1) | instskip(NEXT) | instid1(SALU_CYCLE_1)
	s_and_b32 s8, exec_lo, s8
	s_or_b32 s3, s8, s3
	s_wait_loadcnt 0x0
	ds_store_b128 v2, v[4:7]
	v_add_nc_u32_e32 v2, 0x100, v2
	s_and_not1_b32 exec_lo, exec_lo, s3
	s_cbranch_execnz .LBB5_8
.LBB5_9:                                ; =>This Loop Header: Depth=1
                                        ;     Child Loop BB5_11 Depth 2
	s_or_b32 exec_lo, exec_lo, s1
	s_wait_dscnt 0x0
	s_barrier_signal -1
	s_barrier_wait -1
	s_and_saveexec_b32 s3, s0
	s_cbranch_execz .LBB5_13
; %bb.10:                               ;   in Loop: Header=BB5_9 Depth=1
	v_mov_b32_e32 v24, 0
	s_mov_b32 s1, 0
	s_delay_alu instid0(VALU_DEP_1)
	v_dual_mov_b32 v25, v24 :: v_dual_mov_b32 v26, v24
	v_mov_b32_e32 v27, v24
.LBB5_11:                               ;   Parent Loop BB5_9 Depth=1
                                        ; =>  This Inner Loop Header: Depth=2
	v_dual_add_nc_u32 v0, s1, v30 :: v_dual_add_nc_u32 v35, s1, v20
	s_add_co_i32 s1, s1, 64
	ds_load_b128 v[36:39], v35 offset:1024
	ds_load_b128 v[40:43], v0
	ds_load_b128 v[16:19], v0 offset:16
	ds_load_b128 v[8:11], v0 offset:32
	ds_load_b128 v[0:3], v0 offset:48
	ds_load_b128 v[44:47], v35 offset:1536
	ds_load_b128 v[48:51], v35
	ds_load_b128 v[52:55], v35 offset:16
	ds_load_b128 v[12:15], v35 offset:32
	;; [unrolled: 1-line block ×4, first 2 shown]
	s_cmp_eq_u32 s1, 0x200
	s_wait_dscnt 0x9
	v_dual_mul_f32 v36, v40, v36 :: v_dual_mul_f32 v60, v41, v37
	s_wait_dscnt 0x4
	v_mov_b32_e32 v62, v48
	v_pk_mul_f32 v[44:45], v[40:41], v[44:45]
	s_wait_dscnt 0x0
	v_dual_mov_b32 v63, v56 :: v_dual_mov_b32 v56, v49
	s_delay_alu instid0(VALU_DEP_2) | instskip(NEXT) | instid1(VALU_DEP_2)
	v_mov_b32_e32 v37, v44
	v_pk_fma_f32 v[24:25], v[40:41], v[62:63], v[24:25] op_sel_hi:[0,1,1]
	s_delay_alu instid0(VALU_DEP_2) | instskip(NEXT) | instid1(VALU_DEP_2)
	v_pk_add_f32 v[26:27], v[26:27], v[36:37]
	v_pk_fma_f32 v[24:25], v[40:41], v[56:57], v[24:25] op_sel:[1,0,0]
	v_dual_mov_b32 v40, v50 :: v_dual_mov_b32 v41, v58
	v_dual_mov_b32 v58, v51 :: v_dual_mov_b32 v50, v52
	s_delay_alu instid0(VALU_DEP_2) | instskip(SKIP_1) | instid1(VALU_DEP_1)
	v_pk_fma_f32 v[24:25], v[42:43], v[40:41], v[24:25] op_sel_hi:[0,1,1]
	v_mov_b32_e32 v40, v43
	v_pk_fma_f32 v[48:49], v[40:41], v[58:59], v[24:25] op_sel_hi:[0,1,1]
	v_dual_mul_f32 v24, v42, v38 :: v_dual_mul_f32 v38, v43, v39
	v_pk_mul_f32 v[40:41], v[42:43], v[46:47]
	s_delay_alu instid0(VALU_DEP_1) | instskip(NEXT) | instid1(VALU_DEP_1)
	v_dual_mov_b32 v61, v45 :: v_dual_mov_b32 v25, v40
	v_pk_add_f32 v[26:27], v[26:27], v[60:61]
	s_delay_alu instid0(VALU_DEP_3) | instskip(SKIP_2) | instid1(VALU_DEP_1)
	v_mov_b32_e32 v39, v41
	ds_load_b128 v[40:43], v35 offset:528
	v_pk_add_f32 v[24:25], v[26:27], v[24:25]
	v_pk_add_f32 v[44:45], v[24:25], v[38:39]
	ds_load_b128 v[24:27], v35 offset:1040
	ds_load_b128 v[36:39], v35 offset:1552
	s_wait_dscnt 0x2
	v_dual_mov_b32 v51, v40 :: v_dual_mov_b32 v40, v53
	s_delay_alu instid0(VALU_DEP_1)
	v_pk_fma_f32 v[48:49], v[16:17], v[50:51], v[48:49] op_sel_hi:[0,1,1]
	s_wait_dscnt 0x1
	v_dual_mul_f32 v46, v17, v25 :: v_dual_mul_f32 v24, v16, v24
	s_wait_dscnt 0x0
	v_pk_mul_f32 v[36:37], v[16:17], v[36:37]
	v_pk_fma_f32 v[16:17], v[16:17], v[40:41], v[48:49] op_sel:[1,0,0]
	v_dual_mov_b32 v40, v54 :: v_dual_mov_b32 v41, v42
	s_delay_alu instid0(VALU_DEP_3) | instskip(NEXT) | instid1(VALU_DEP_4)
	v_dual_mov_b32 v42, v55 :: v_dual_mov_b32 v25, v36
	v_mov_b32_e32 v47, v37
	s_delay_alu instid0(VALU_DEP_3) | instskip(SKIP_1) | instid1(VALU_DEP_4)
	v_pk_fma_f32 v[16:17], v[18:19], v[40:41], v[16:17] op_sel_hi:[0,1,1]
	v_mov_b32_e32 v40, v19
	v_pk_add_f32 v[24:25], v[44:45], v[24:25]
	s_delay_alu instid0(VALU_DEP_2) | instskip(SKIP_2) | instid1(VALU_DEP_4)
	v_pk_fma_f32 v[40:41], v[40:41], v[42:43], v[16:17] op_sel_hi:[0,1,1]
	v_dual_mul_f32 v16, v18, v26 :: v_dual_mul_f32 v26, v19, v27
	v_pk_mul_f32 v[18:19], v[18:19], v[38:39]
	v_pk_add_f32 v[24:25], v[24:25], v[46:47]
	ds_load_b128 v[36:39], v35 offset:544
	v_dual_mov_b32 v46, v12 :: v_dual_mov_b32 v12, v14
	v_dual_mov_b32 v17, v18 :: v_dual_mov_b32 v27, v19
	s_delay_alu instid0(VALU_DEP_1) | instskip(NEXT) | instid1(VALU_DEP_1)
	v_pk_add_f32 v[16:17], v[24:25], v[16:17]
	v_pk_add_f32 v[42:43], v[16:17], v[26:27]
	ds_load_b128 v[16:19], v35 offset:1056
	ds_load_b128 v[24:27], v35 offset:1568
	s_wait_dscnt 0x2
	v_dual_mov_b32 v47, v36 :: v_dual_mov_b32 v36, v13
	v_dual_mov_b32 v13, v38 :: v_dual_mov_b32 v38, v15
	s_delay_alu instid0(VALU_DEP_2)
	v_pk_fma_f32 v[40:41], v[8:9], v[46:47], v[40:41] op_sel_hi:[0,1,1]
	s_wait_dscnt 0x1
	v_dual_mul_f32 v16, v8, v16 :: v_dual_mul_f32 v44, v9, v17
	s_wait_dscnt 0x0
	v_pk_mul_f32 v[24:25], v[8:9], v[24:25]
	v_pk_fma_f32 v[8:9], v[8:9], v[36:37], v[40:41] op_sel:[1,0,0]
	s_delay_alu instid0(VALU_DEP_2) | instskip(NEXT) | instid1(VALU_DEP_2)
	v_mov_b32_e32 v17, v24
	v_pk_fma_f32 v[8:9], v[10:11], v[12:13], v[8:9] op_sel_hi:[0,1,1]
	v_dual_mov_b32 v12, v11 :: v_dual_mov_b32 v24, v4
	s_delay_alu instid0(VALU_DEP_3) | instskip(NEXT) | instid1(VALU_DEP_2)
	v_pk_add_f32 v[14:15], v[42:43], v[16:17]
	v_pk_fma_f32 v[36:37], v[12:13], v[38:39], v[8:9] op_sel_hi:[0,1,1]
	v_dual_mul_f32 v12, v11, v19 :: v_dual_mul_f32 v8, v10, v18
	v_pk_mul_f32 v[10:11], v[10:11], v[26:27]
	v_mov_b32_e32 v45, v25
	ds_load_b128 v[16:19], v35 offset:560
	v_dual_mov_b32 v4, v6 :: v_dual_mov_b32 v9, v10
	v_pk_add_f32 v[14:15], v[14:15], v[44:45]
	v_mov_b32_e32 v13, v11
	s_delay_alu instid0(VALU_DEP_2) | instskip(NEXT) | instid1(VALU_DEP_1)
	v_pk_add_f32 v[8:9], v[14:15], v[8:9]
	v_pk_add_f32 v[26:27], v[8:9], v[12:13]
	ds_load_b128 v[8:11], v35 offset:1072
	ds_load_b128 v[12:15], v35 offset:1584
	s_wait_dscnt 0x2
	v_dual_mov_b32 v25, v16 :: v_dual_mov_b32 v16, v5
	v_dual_mov_b32 v5, v18 :: v_dual_mov_b32 v18, v7
	s_delay_alu instid0(VALU_DEP_2)
	v_pk_fma_f32 v[24:25], v[0:1], v[24:25], v[36:37] op_sel_hi:[0,1,1]
	s_wait_dscnt 0x1
	v_dual_mul_f32 v38, v1, v9 :: v_dual_mul_f32 v8, v0, v8
	s_wait_dscnt 0x0
	v_pk_mul_f32 v[12:13], v[0:1], v[12:13]
	v_pk_fma_f32 v[0:1], v[0:1], v[16:17], v[24:25] op_sel:[1,0,0]
	s_delay_alu instid0(VALU_DEP_2) | instskip(NEXT) | instid1(VALU_DEP_2)
	v_dual_mov_b32 v9, v12 :: v_dual_mov_b32 v39, v13
	v_pk_fma_f32 v[0:1], v[2:3], v[4:5], v[0:1] op_sel_hi:[0,1,1]
	v_mov_b32_e32 v4, v3
	s_delay_alu instid0(VALU_DEP_3) | instskip(NEXT) | instid1(VALU_DEP_2)
	v_pk_add_f32 v[6:7], v[26:27], v[8:9]
	v_pk_fma_f32 v[24:25], v[4:5], v[18:19], v[0:1] op_sel_hi:[0,1,1]
	v_dual_mul_f32 v0, v2, v10 :: v_dual_mul_f32 v4, v3, v11
	v_pk_mul_f32 v[2:3], v[2:3], v[14:15]
	s_delay_alu instid0(VALU_DEP_4) | instskip(NEXT) | instid1(VALU_DEP_2)
	v_pk_add_f32 v[6:7], v[6:7], v[38:39]
	v_dual_mov_b32 v1, v2 :: v_dual_mov_b32 v5, v3
	s_delay_alu instid0(VALU_DEP_1) | instskip(NEXT) | instid1(VALU_DEP_1)
	v_pk_add_f32 v[0:1], v[6:7], v[0:1]
	v_pk_add_f32 v[26:27], v[0:1], v[4:5]
	s_cbranch_scc0 .LBB5_11
; %bb.12:                               ;   in Loop: Header=BB5_9 Depth=1
	v_cmp_gt_f32_e64 s1, v24, v21
	s_delay_alu instid0(VALU_DEP_1) | instskip(NEXT) | instid1(VALU_DEP_1)
	v_dual_cndmask_b32 v2, v21, v24, s1 :: v_dual_bitop2_b32 v0, s2, v31 bitop3:0x54
	v_dual_cndmask_b32 v1, v34, v0, s1 :: v_dual_bitop2_b32 v3, 1, v0 bitop3:0x54
	s_delay_alu instid0(VALU_DEP_2) | instskip(NEXT) | instid1(VALU_DEP_1)
	v_cmp_gt_f32_e64 s1, v25, v2
	v_dual_cndmask_b32 v1, v1, v3, s1 :: v_dual_cndmask_b32 v2, v2, v25, s1
	s_delay_alu instid0(VALU_DEP_1) | instskip(SKIP_1) | instid1(VALU_DEP_2)
	v_cmp_gt_f32_e64 s1, v26, v2
	v_or_b32_e32 v3, 2, v0
	v_dual_cndmask_b32 v2, v2, v26, s1 :: v_dual_bitop2_b32 v0, 3, v0 bitop3:0x54
	s_delay_alu instid0(VALU_DEP_2) | instskip(NEXT) | instid1(VALU_DEP_2)
	v_cndmask_b32_e64 v1, v1, v3, s1
	v_cmp_gt_f32_e64 s1, v27, v2
	s_delay_alu instid0(VALU_DEP_1)
	v_dual_cndmask_b32 v34, v1, v0, s1 :: v_dual_cndmask_b32 v21, v2, v27, s1
.LBB5_13:                               ;   in Loop: Header=BB5_9 Depth=1
	s_or_b32 exec_lo, exec_lo, s3
	v_add_nc_u64_e32 v[22:23], 0x2000, v[22:23]
	s_add_co_i32 s1, s2, 16
	s_cmp_gt_u32 s2, 0x3fef
	s_barrier_signal -1
	s_barrier_wait -1
	s_cbranch_scc1 .LBB5_15
; %bb.14:                               ;   in Loop: Header=BB5_9 Depth=1
	s_mov_b32 s2, s1
	s_and_saveexec_b32 s1, vcc_lo
	s_cbranch_execnz .LBB5_7
	s_branch .LBB5_9
.LBB5_15:
	s_and_saveexec_b32 s1, s0
; %bb.16:
	v_lshlrev_b32_e32 v0, 4, v29
	s_delay_alu instid0(VALU_DEP_1)
	v_add_lshl_u32 v0, v0, v28, 2
	ds_store_2addr_stride64_b32 v0, v21, v34 offset1:1
; %bb.17:
	s_or_b32 exec_lo, exec_lo, s1
	s_wait_dscnt 0x0
	s_barrier_signal -1
	s_barrier_wait -1
	s_mov_b32 s0, exec_lo
	v_cmpx_eq_u32_e32 0, v29
	s_cbranch_execz .LBB5_19
; %bb.18:
	v_dual_lshlrev_b32 v2, 2, v28 :: v_dual_add_nc_u32 v4, 16, v28
	ds_load_2addr_b32 v[0:1], v2 offset1:16
	ds_load_2addr_b32 v[2:3], v2 offset0:32 offset1:48
	s_wait_dscnt 0x1
	v_cmp_gt_f32_e32 vcc_lo, v1, v0
	v_dual_cndmask_b32 v0, v0, v1 :: v_dual_add_nc_u32 v1, 32, v28
	v_cndmask_b32_e32 v4, v28, v4, vcc_lo
	s_wait_dscnt 0x0
	s_delay_alu instid0(VALU_DEP_2) | instskip(SKIP_1) | instid1(VALU_DEP_3)
	v_cmp_gt_f32_e32 vcc_lo, v2, v0
	v_cndmask_b32_e32 v0, v0, v2, vcc_lo
	v_dual_cndmask_b32 v1, v4, v1 :: v_dual_add_nc_u32 v2, 48, v28
	s_delay_alu instid0(VALU_DEP_2) | instskip(NEXT) | instid1(VALU_DEP_2)
	v_cmp_gt_f32_e32 vcc_lo, v3, v0
	v_dual_cndmask_b32 v1, v1, v2 :: v_dual_add_nc_u32 v2, s10, v28
	s_delay_alu instid0(VALU_DEP_1)
	v_dual_cndmask_b32 v0, v0, v3 :: v_dual_lshlrev_b32 v1, 2, v1
	ds_load_b32 v1, v1 offset:256
	global_store_b32 v2, v0, s[4:5] scale_offset
	s_wait_dscnt 0x0
	global_store_b32 v2, v1, s[6:7] scale_offset
.LBB5_19:
	s_endpgm
	.section	.rodata,"a",@progbits
	.p2align	6, 0x0
	.amdhsa_kernel _Z6Match6PKfS0_PfPi
		.amdhsa_group_segment_fixed_size 16640
		.amdhsa_private_segment_fixed_size 0
		.amdhsa_kernarg_size 32
		.amdhsa_user_sgpr_count 2
		.amdhsa_user_sgpr_dispatch_ptr 0
		.amdhsa_user_sgpr_queue_ptr 0
		.amdhsa_user_sgpr_kernarg_segment_ptr 1
		.amdhsa_user_sgpr_dispatch_id 0
		.amdhsa_user_sgpr_kernarg_preload_length 0
		.amdhsa_user_sgpr_kernarg_preload_offset 0
		.amdhsa_user_sgpr_private_segment_size 0
		.amdhsa_wavefront_size32 1
		.amdhsa_uses_dynamic_stack 0
		.amdhsa_enable_private_segment 0
		.amdhsa_system_sgpr_workgroup_id_x 1
		.amdhsa_system_sgpr_workgroup_id_y 0
		.amdhsa_system_sgpr_workgroup_id_z 0
		.amdhsa_system_sgpr_workgroup_info 0
		.amdhsa_system_vgpr_workitem_id 1
		.amdhsa_next_free_vgpr 64
		.amdhsa_next_free_sgpr 12
		.amdhsa_named_barrier_count 0
		.amdhsa_reserve_vcc 1
		.amdhsa_float_round_mode_32 0
		.amdhsa_float_round_mode_16_64 0
		.amdhsa_float_denorm_mode_32 3
		.amdhsa_float_denorm_mode_16_64 3
		.amdhsa_fp16_overflow 0
		.amdhsa_memory_ordered 1
		.amdhsa_forward_progress 1
		.amdhsa_inst_pref_size 15
		.amdhsa_round_robin_scheduling 0
		.amdhsa_exception_fp_ieee_invalid_op 0
		.amdhsa_exception_fp_denorm_src 0
		.amdhsa_exception_fp_ieee_div_zero 0
		.amdhsa_exception_fp_ieee_overflow 0
		.amdhsa_exception_fp_ieee_underflow 0
		.amdhsa_exception_fp_ieee_inexact 0
		.amdhsa_exception_int_div_zero 0
	.end_amdhsa_kernel
	.text
.Lfunc_end5:
	.size	_Z6Match6PKfS0_PfPi, .Lfunc_end5-_Z6Match6PKfS0_PfPi
                                        ; -- End function
	.set _Z6Match6PKfS0_PfPi.num_vgpr, 64
	.set _Z6Match6PKfS0_PfPi.num_agpr, 0
	.set _Z6Match6PKfS0_PfPi.numbered_sgpr, 12
	.set _Z6Match6PKfS0_PfPi.num_named_barrier, 0
	.set _Z6Match6PKfS0_PfPi.private_seg_size, 0
	.set _Z6Match6PKfS0_PfPi.uses_vcc, 1
	.set _Z6Match6PKfS0_PfPi.uses_flat_scratch, 0
	.set _Z6Match6PKfS0_PfPi.has_dyn_sized_stack, 0
	.set _Z6Match6PKfS0_PfPi.has_recursion, 0
	.set _Z6Match6PKfS0_PfPi.has_indirect_call, 0
	.section	.AMDGPU.csdata,"",@progbits
; Kernel info:
; codeLenInByte = 1824
; TotalNumSgprs: 14
; NumVgprs: 64
; ScratchSize: 0
; MemoryBound: 0
; FloatMode: 240
; IeeeMode: 1
; LDSByteSize: 16640 bytes/workgroup (compile time only)
; SGPRBlocks: 0
; VGPRBlocks: 3
; NumSGPRsForWavesPerEU: 14
; NumVGPRsForWavesPerEU: 64
; NamedBarCnt: 0
; Occupancy: 16
; WaveLimiterHint : 0
; COMPUTE_PGM_RSRC2:SCRATCH_EN: 0
; COMPUTE_PGM_RSRC2:USER_SGPR: 2
; COMPUTE_PGM_RSRC2:TRAP_HANDLER: 0
; COMPUTE_PGM_RSRC2:TGID_X_EN: 1
; COMPUTE_PGM_RSRC2:TGID_Y_EN: 0
; COMPUTE_PGM_RSRC2:TGID_Z_EN: 0
; COMPUTE_PGM_RSRC2:TIDIG_COMP_CNT: 1
	.text
	.protected	_Z6Match7PKfS0_PfPi     ; -- Begin function _Z6Match7PKfS0_PfPi
	.globl	_Z6Match7PKfS0_PfPi
	.p2align	8
	.type	_Z6Match7PKfS0_PfPi,@function
_Z6Match7PKfS0_PfPi:                    ; @_Z6Match7PKfS0_PfPi
; %bb.0:
	v_bfe_u32 v27, v0, 10, 10
	v_lshrrev_b32_e32 v1, 10, v0
	s_bfe_u32 s2, ttmp6, 0x4000c
	s_and_b32 s3, ttmp6, 15
	s_add_co_i32 s2, s2, 1
	s_getreg_b32 s4, hwreg(HW_REG_IB_STS2, 6, 4)
	v_bitop3_b32 v2, v0, v1, 0x3ff bitop3:0xa8
	s_mul_i32 s2, ttmp9, s2
	v_lshlrev_b32_e32 v1, 9, v27
	s_add_co_i32 s3, s3, s2
	s_cmp_eq_u32 s4, 0
	v_cmp_gt_u32_e32 vcc_lo, 32, v2
	v_cmp_lt_u32_e64 s2, 31, v2
	v_lshlrev_b32_e32 v2, 5, v27
	s_cselect_b32 s10, ttmp9, s3
	s_and_saveexec_b32 s3, s2
	s_delay_alu instid0(SALU_CYCLE_1)
	s_xor_b32 s2, exec_lo, s3
; %bb.1:
	v_dual_lshlrev_b32 v1, 9, v27 :: v_dual_lshlrev_b32 v2, 5, v27
; %bb.2:
	s_or_saveexec_b32 s11, s2
	s_clause 0x1
	s_load_b128 s[4:7], s[0:1], 0x8
	s_load_b64 s[2:3], s[0:1], 0x18
	v_and_b32_e32 v26, 0x3ff, v0
	s_xor_b32 exec_lo, exec_lo, s11
	s_cbranch_execz .LBB6_6
; %bb.3:
	s_load_b64 s[8:9], s[0:1], 0x0
	s_delay_alu instid0(VALU_DEP_1)
	v_dual_add_nc_u32 v0, v27, v26 :: v_dual_mov_b32 v4, v1
	v_lshl_add_u32 v3, s10, 10, v2
	v_mov_b32_e32 v5, v27
	s_wait_xcnt 0x0
	s_mov_b32 s1, 0
.LBB6_4:                                ; =>This Inner Loop Header: Depth=1
	s_delay_alu instid0(VALU_DEP_2) | instskip(NEXT) | instid1(VALU_DEP_2)
	v_dual_add_nc_u32 v6, v26, v3 :: v_dual_bitop2_b32 v10, 31, v0 bitop3:0x40
	v_add_nc_u32_e32 v11, 8, v5
	v_cmp_lt_u32_e64 s0, 23, v5
	v_add_nc_u16 v0, v0, 8
	s_wait_kmcnt 0x0
	global_load_b128 v[6:9], v6, s[8:9] scale_offset
	v_add_nc_u32_e32 v3, 0x100, v3
	v_lshl_add_u32 v10, v10, 4, v4
	v_dual_mov_b32 v5, v11 :: v_dual_add_nc_u32 v4, 0x1000, v4
	s_or_b32 s1, s0, s1
	s_wait_loadcnt 0x0
	ds_store_b128 v10, v[6:9]
	s_wait_xcnt 0x0
	s_and_not1_b32 exec_lo, exec_lo, s1
	s_cbranch_execnz .LBB6_4
; %bb.5:
	s_or_b32 exec_lo, exec_lo, s1
.LBB6_6:
	s_delay_alu instid0(SALU_CYCLE_1) | instskip(NEXT) | instid1(VALU_DEP_1)
	s_or_b32 exec_lo, exec_lo, s11
	v_dual_mov_b32 v17, 0 :: v_dual_lshlrev_b32 v0, 4, v26
	v_dual_add_nc_u32 v16, v26, v2 :: v_dual_lshlrev_b32 v29, 2, v27
	v_dual_lshlrev_b32 v28, 9, v26 :: v_dual_add_nc_u32 v30, -8, v27
	s_delay_alu instid0(VALU_DEP_3) | instskip(SKIP_1) | instid1(VALU_DEP_3)
	v_add3_u32 v31, v1, v0, 0x4000
	s_wait_kmcnt 0x0
	v_lshl_add_u64 v[18:19], v[16:17], 4, s[4:5]
	v_lshl_add_u32 v32, v27, 11, 0x4000
	v_mov_b32_e32 v33, -1
	s_mov_b32 s1, 0
	s_and_saveexec_b32 s4, vcc_lo
	s_cbranch_execz .LBB6_9
.LBB6_7:
	v_mov_b64_e32 v[0:1], v[18:19]
	v_dual_mov_b32 v2, v31 :: v_dual_mov_b32 v3, v30
	s_mov_b32 s5, 0
.LBB6_8:                                ; =>This Inner Loop Header: Depth=1
	global_load_b128 v[4:7], v[0:1], off
	v_add_nc_u32_e32 v3, 8, v3
	s_wait_xcnt 0x0
	v_add_nc_u64_e32 v[0:1], 0x1000, v[0:1]
	s_delay_alu instid0(VALU_DEP_2)
	v_cmp_lt_u32_e64 s0, 23, v3
	s_or_b32 s5, s0, s5
	s_wait_loadcnt 0x0
	ds_store_b128 v2, v[4:7]
	v_add_nc_u32_e32 v2, 0x1000, v2
	s_and_not1_b32 exec_lo, exec_lo, s5
	s_cbranch_execnz .LBB6_8
.LBB6_9:                                ; =>This Loop Header: Depth=1
                                        ;     Child Loop BB6_10 Depth 2
	s_or_b32 exec_lo, exec_lo, s4
	v_dual_mov_b32 v8, 0 :: v_dual_mov_b32 v34, v32
	s_mov_b32 s0, 0
	s_wait_dscnt 0x0
	s_barrier_signal -1
	s_delay_alu instid0(VALU_DEP_1)
	v_dual_mov_b32 v9, v8 :: v_dual_mov_b32 v10, v8
	v_mov_b32_e32 v11, v8
	s_barrier_wait -1
.LBB6_10:                               ;   Parent Loop BB6_9 Depth=1
                                        ; =>  This Inner Loop Header: Depth=2
	v_add_nc_u32_e32 v35, s0, v26
	s_add_co_i32 s0, s0, 4
	s_delay_alu instid0(SALU_CYCLE_1) | instskip(NEXT) | instid1(VALU_DEP_1)
	s_cmp_eq_u32 s0, 32
	v_and_b32_e32 v0, 31, v35
	s_delay_alu instid0(VALU_DEP_1)
	v_lshl_add_u32 v0, v0, 4, v28
	ds_load_b128 v[12:15], v34 offset:1024
	ds_load_b128 v[20:23], v0
	ds_load_b128 v[36:39], v34 offset:1536
	ds_load_b128 v[40:43], v34
	ds_load_b128 v[44:47], v34 offset:16
	ds_load_b128 v[4:7], v34 offset:32
	;; [unrolled: 1-line block ×4, first 2 shown]
	s_wait_dscnt 0x4
	v_mov_b32_e32 v52, v40
	v_dual_mul_f32 v12, v20, v12 :: v_dual_mul_f32 v24, v21, v13
	s_wait_dscnt 0x0
	v_dual_mov_b32 v53, v48 :: v_dual_mov_b32 v48, v41
	v_pk_mul_f32 v[36:37], v[20:21], v[36:37]
	s_delay_alu instid0(VALU_DEP_2) | instskip(NEXT) | instid1(VALU_DEP_2)
	v_pk_fma_f32 v[8:9], v[20:21], v[52:53], v[8:9] op_sel_hi:[0,1,1]
	v_mov_b32_e32 v13, v36
	s_delay_alu instid0(VALU_DEP_2) | instskip(SKIP_2) | instid1(VALU_DEP_4)
	v_pk_fma_f32 v[8:9], v[20:21], v[48:49], v[8:9] op_sel:[1,0,0]
	v_dual_mov_b32 v20, v42 :: v_dual_mov_b32 v21, v50
	v_mov_b32_e32 v50, v43
	v_pk_add_f32 v[10:11], v[10:11], v[12:13]
	s_delay_alu instid0(VALU_DEP_3) | instskip(SKIP_1) | instid1(VALU_DEP_1)
	v_pk_fma_f32 v[8:9], v[22:23], v[20:21], v[8:9] op_sel_hi:[0,1,1]
	v_mov_b32_e32 v20, v23
	v_pk_fma_f32 v[40:41], v[20:21], v[50:51], v[8:9] op_sel_hi:[0,1,1]
	v_dual_mul_f32 v8, v22, v14 :: v_dual_mul_f32 v14, v23, v15
	v_pk_mul_f32 v[20:21], v[22:23], v[38:39]
	s_delay_alu instid0(VALU_DEP_1) | instskip(NEXT) | instid1(VALU_DEP_1)
	v_dual_mov_b32 v25, v37 :: v_dual_mov_b32 v9, v20
	v_pk_add_f32 v[10:11], v[10:11], v[24:25]
	s_delay_alu instid0(VALU_DEP_3) | instskip(NEXT) | instid1(VALU_DEP_2)
	v_mov_b32_e32 v15, v21
	v_pk_add_f32 v[8:9], v[10:11], v[8:9]
	s_delay_alu instid0(VALU_DEP_1) | instskip(SKIP_1) | instid1(VALU_DEP_1)
	v_pk_add_f32 v[24:25], v[8:9], v[14:15]
	v_add_nc_u32_e32 v8, 1, v35
	v_and_b32_e32 v8, 31, v8
	s_delay_alu instid0(VALU_DEP_1)
	v_lshl_add_u32 v12, v8, 4, v28
	ds_load_b128 v[8:11], v34 offset:1040
	ds_load_b128 v[12:15], v12
	ds_load_b128 v[20:23], v34 offset:1552
	ds_load_b128 v[36:39], v34 offset:528
	v_mov_b32_e32 v48, v44
	s_wait_dscnt 0x2
	v_dual_mul_f32 v8, v12, v8 :: v_dual_mul_f32 v42, v13, v9
	s_wait_dscnt 0x0
	v_dual_mov_b32 v49, v36 :: v_dual_mov_b32 v36, v45
	v_pk_mul_f32 v[20:21], v[12:13], v[20:21]
	v_mul_f32_e32 v10, v14, v10
	s_delay_alu instid0(VALU_DEP_3) | instskip(NEXT) | instid1(VALU_DEP_3)
	v_pk_fma_f32 v[40:41], v[12:13], v[48:49], v[40:41] op_sel_hi:[0,1,1]
	v_dual_mov_b32 v9, v20 :: v_dual_mov_b32 v43, v21
	s_delay_alu instid0(VALU_DEP_2) | instskip(SKIP_2) | instid1(VALU_DEP_4)
	v_pk_fma_f32 v[12:13], v[12:13], v[36:37], v[40:41] op_sel:[1,0,0]
	v_dual_mov_b32 v36, v46 :: v_dual_mov_b32 v37, v38
	v_mov_b32_e32 v38, v47
	v_pk_add_f32 v[8:9], v[24:25], v[8:9]
	v_mov_b32_e32 v24, v4
	s_delay_alu instid0(VALU_DEP_4) | instskip(SKIP_1) | instid1(VALU_DEP_4)
	v_pk_fma_f32 v[12:13], v[14:15], v[36:37], v[12:13] op_sel_hi:[0,1,1]
	v_mov_b32_e32 v36, v15
	v_pk_add_f32 v[8:9], v[8:9], v[42:43]
	s_delay_alu instid0(VALU_DEP_2) | instskip(SKIP_2) | instid1(VALU_DEP_1)
	v_pk_fma_f32 v[40:41], v[36:37], v[38:39], v[12:13] op_sel_hi:[0,1,1]
	v_mul_f32_e32 v12, v15, v11
	v_pk_mul_f32 v[14:15], v[14:15], v[22:23]
	v_dual_mov_b32 v11, v14 :: v_dual_mov_b32 v13, v15
	s_delay_alu instid0(VALU_DEP_1) | instskip(NEXT) | instid1(VALU_DEP_1)
	v_pk_add_f32 v[8:9], v[8:9], v[10:11]
	v_pk_add_f32 v[42:43], v[8:9], v[12:13]
	v_add_nc_u32_e32 v8, 2, v35
	s_delay_alu instid0(VALU_DEP_1) | instskip(NEXT) | instid1(VALU_DEP_1)
	v_and_b32_e32 v8, 31, v8
	v_lshl_add_u32 v12, v8, 4, v28
	ds_load_b128 v[8:11], v34 offset:1056
	ds_load_b128 v[12:15], v12
	ds_load_b128 v[20:23], v34 offset:1568
	ds_load_b128 v[36:39], v34 offset:544
	s_wait_dscnt 0x2
	v_dual_mul_f32 v8, v12, v8 :: v_dual_mul_f32 v44, v13, v9
	s_wait_dscnt 0x0
	v_dual_mov_b32 v25, v36 :: v_dual_mov_b32 v36, v5
	v_pk_mul_f32 v[20:21], v[12:13], v[20:21]
	s_delay_alu instid0(VALU_DEP_2) | instskip(NEXT) | instid1(VALU_DEP_2)
	v_pk_fma_f32 v[24:25], v[12:13], v[24:25], v[40:41] op_sel_hi:[0,1,1]
	v_dual_mov_b32 v40, v0 :: v_dual_mov_b32 v9, v20
	s_delay_alu instid0(VALU_DEP_2) | instskip(SKIP_2) | instid1(VALU_DEP_4)
	v_pk_fma_f32 v[4:5], v[12:13], v[36:37], v[24:25] op_sel:[1,0,0]
	v_dual_mov_b32 v12, v6 :: v_dual_mov_b32 v13, v38
	v_dual_mov_b32 v6, v15 :: v_dual_mov_b32 v38, v7
	v_pk_add_f32 v[8:9], v[42:43], v[8:9]
	s_delay_alu instid0(VALU_DEP_3) | instskip(NEXT) | instid1(VALU_DEP_1)
	v_pk_fma_f32 v[4:5], v[14:15], v[12:13], v[4:5] op_sel_hi:[0,1,1]
	v_pk_fma_f32 v[24:25], v[6:7], v[38:39], v[4:5] op_sel_hi:[0,1,1]
	v_dual_mul_f32 v6, v15, v11 :: v_dual_mul_f32 v4, v14, v10
	v_pk_mul_f32 v[10:11], v[14:15], v[22:23]
	s_delay_alu instid0(VALU_DEP_1) | instskip(NEXT) | instid1(VALU_DEP_1)
	v_dual_mov_b32 v45, v21 :: v_dual_mov_b32 v5, v10
	v_pk_add_f32 v[8:9], v[8:9], v[44:45]
	s_delay_alu instid0(VALU_DEP_3) | instskip(NEXT) | instid1(VALU_DEP_2)
	v_mov_b32_e32 v7, v11
	v_pk_add_f32 v[4:5], v[8:9], v[4:5]
	s_delay_alu instid0(VALU_DEP_1) | instskip(SKIP_1) | instid1(VALU_DEP_1)
	v_pk_add_f32 v[20:21], v[4:5], v[6:7]
	v_add_nc_u32_e32 v4, 3, v35
	v_and_b32_e32 v4, 31, v4
	s_delay_alu instid0(VALU_DEP_1)
	v_lshl_add_u32 v8, v4, 4, v28
	ds_load_b128 v[4:7], v34 offset:1072
	ds_load_b128 v[8:11], v8
	ds_load_b128 v[12:15], v34 offset:1584
	ds_load_b128 v[36:39], v34 offset:560
	s_wait_dscnt 0x2
	v_dual_add_nc_u32 v34, 64, v34 :: v_dual_mul_f32 v22, v8, v4
	s_wait_dscnt 0x0
	v_dual_mul_f32 v4, v9, v5 :: v_dual_mov_b32 v41, v36
	v_mov_b32_e32 v36, v1
	v_pk_mul_f32 v[12:13], v[8:9], v[12:13]
	s_delay_alu instid0(VALU_DEP_3) | instskip(NEXT) | instid1(VALU_DEP_2)
	v_pk_fma_f32 v[24:25], v[8:9], v[40:41], v[24:25] op_sel_hi:[0,1,1]
	v_dual_mov_b32 v23, v12 :: v_dual_mov_b32 v5, v13
	s_delay_alu instid0(VALU_DEP_2) | instskip(SKIP_2) | instid1(VALU_DEP_2)
	v_pk_fma_f32 v[0:1], v[8:9], v[36:37], v[24:25] op_sel:[1,0,0]
	v_dual_mov_b32 v8, v2 :: v_dual_mov_b32 v9, v38
	v_dual_mov_b32 v2, v11 :: v_dual_mov_b32 v38, v3
	v_pk_fma_f32 v[0:1], v[10:11], v[8:9], v[0:1] op_sel_hi:[0,1,1]
	s_delay_alu instid0(VALU_DEP_1) | instskip(SKIP_3) | instid1(VALU_DEP_2)
	v_pk_fma_f32 v[8:9], v[2:3], v[38:39], v[0:1] op_sel_hi:[0,1,1]
	v_dual_mul_f32 v0, v10, v6 :: v_dual_mul_f32 v2, v11, v7
	v_pk_mul_f32 v[6:7], v[10:11], v[14:15]
	v_pk_add_f32 v[10:11], v[20:21], v[22:23]
	v_dual_mov_b32 v1, v6 :: v_dual_mov_b32 v3, v7
	s_delay_alu instid0(VALU_DEP_2) | instskip(NEXT) | instid1(VALU_DEP_1)
	v_pk_add_f32 v[4:5], v[10:11], v[4:5]
	v_pk_add_f32 v[0:1], v[4:5], v[0:1]
	s_delay_alu instid0(VALU_DEP_1)
	v_pk_add_f32 v[10:11], v[0:1], v[2:3]
	s_cbranch_scc0 .LBB6_10
; %bb.11:                               ;   in Loop: Header=BB6_9 Depth=1
	v_cmp_gt_f32_e64 s0, v8, v17
	v_add_nc_u32_e32 v0, s1, v29
	v_add_nc_u64_e32 v[18:19], 0x4000, v[18:19]
	s_barrier_signal -1
	s_delay_alu instid0(VALU_DEP_3) | instskip(NEXT) | instid1(VALU_DEP_3)
	v_cndmask_b32_e64 v2, v17, v8, s0
	v_dual_cndmask_b32 v1, v33, v0, s0 :: v_dual_bitop2_b32 v3, 1, v0 bitop3:0x54
	s_barrier_wait -1
	s_delay_alu instid0(VALU_DEP_2) | instskip(NEXT) | instid1(VALU_DEP_1)
	v_cmp_gt_f32_e64 s0, v9, v2
	v_dual_cndmask_b32 v1, v1, v3, s0 :: v_dual_cndmask_b32 v2, v2, v9, s0
	s_delay_alu instid0(VALU_DEP_1) | instskip(SKIP_1) | instid1(VALU_DEP_2)
	v_cmp_gt_f32_e64 s0, v10, v2
	v_or_b32_e32 v3, 2, v0
	v_dual_cndmask_b32 v2, v2, v10, s0 :: v_dual_bitop2_b32 v0, 3, v0 bitop3:0x54
	s_delay_alu instid0(VALU_DEP_2) | instskip(NEXT) | instid1(VALU_DEP_2)
	v_cndmask_b32_e64 v1, v1, v3, s0
	v_cmp_gt_f32_e64 s0, v11, v2
	s_delay_alu instid0(VALU_DEP_1)
	v_dual_cndmask_b32 v33, v1, v0, s0 :: v_dual_cndmask_b32 v17, v2, v11, s0
	s_add_co_i32 s0, s1, 32
	s_cmp_gt_u32 s1, 0x3fdf
	s_cbranch_scc1 .LBB6_13
; %bb.12:                               ;   in Loop: Header=BB6_9 Depth=1
	s_mov_b32 s1, s0
	s_and_saveexec_b32 s4, vcc_lo
	s_cbranch_execnz .LBB6_7
	s_branch .LBB6_9
.LBB6_13:
	v_lshlrev_b32_e32 v0, 2, v16
	s_mov_b32 s0, exec_lo
	ds_store_2addr_stride64_b32 v0, v17, v33 offset1:4
	s_wait_dscnt 0x0
	s_barrier_signal -1
	s_barrier_wait -1
	v_cmpx_eq_u32_e32 0, v27
	s_cbranch_execz .LBB6_15
; %bb.14:
	v_dual_lshlrev_b32 v4, 2, v26 :: v_dual_add_nc_u32 v5, 32, v26
	ds_load_2addr_b32 v[0:1], v4 offset1:32
	ds_load_2addr_b32 v[2:3], v4 offset0:64 offset1:96
	v_add_nc_u32_e32 v7, 64, v26
	s_wait_dscnt 0x1
	v_cmp_gt_f32_e32 vcc_lo, v1, v0
	v_cndmask_b32_e32 v5, v26, v5, vcc_lo
	v_cndmask_b32_e32 v6, v0, v1, vcc_lo
	ds_load_2addr_b32 v[0:1], v4 offset0:128 offset1:160
	s_wait_dscnt 0x1
	v_cmp_gt_f32_e32 vcc_lo, v2, v6
	v_cndmask_b32_e32 v5, v5, v7, vcc_lo
	v_add_nc_u32_e32 v7, 0x80, v26
	v_cndmask_b32_e32 v2, v6, v2, vcc_lo
	v_add_nc_u32_e32 v6, 0x60, v26
	s_delay_alu instid0(VALU_DEP_2) | instskip(NEXT) | instid1(VALU_DEP_2)
	v_cmp_gt_f32_e32 vcc_lo, v3, v2
	v_dual_cndmask_b32 v5, v5, v6 :: v_dual_cndmask_b32 v6, v2, v3
	ds_load_2addr_b32 v[2:3], v4 offset0:192 offset1:224
	s_wait_dscnt 0x1
	v_cmp_gt_f32_e32 vcc_lo, v0, v6
	v_dual_cndmask_b32 v0, v6, v0, vcc_lo :: v_dual_cndmask_b32 v4, v5, v7, vcc_lo
	s_delay_alu instid0(VALU_DEP_1) | instskip(SKIP_1) | instid1(VALU_DEP_1)
	v_cmp_gt_f32_e32 vcc_lo, v1, v0
	v_dual_cndmask_b32 v0, v0, v1 :: v_dual_add_nc_u32 v5, 0xa0, v26
	v_dual_cndmask_b32 v4, v4, v5 :: v_dual_add_nc_u32 v1, 0xc0, v26
	s_wait_dscnt 0x0
	s_delay_alu instid0(VALU_DEP_2) | instskip(NEXT) | instid1(VALU_DEP_2)
	v_cmp_gt_f32_e32 vcc_lo, v2, v0
	v_cndmask_b32_e32 v1, v4, v1, vcc_lo
	v_cndmask_b32_e32 v0, v0, v2, vcc_lo
	v_add_nc_u32_e32 v2, 0xe0, v26
	s_delay_alu instid0(VALU_DEP_2) | instskip(NEXT) | instid1(VALU_DEP_2)
	v_cmp_gt_f32_e32 vcc_lo, v3, v0
	v_dual_cndmask_b32 v1, v1, v2 :: v_dual_cndmask_b32 v0, v0, v3
	v_lshl_add_u32 v2, s10, 5, v26
	s_delay_alu instid0(VALU_DEP_2)
	v_lshlrev_b32_e32 v1, 2, v1
	ds_load_b32 v1, v1 offset:1024
	global_store_b32 v2, v0, s[6:7] scale_offset
	s_wait_dscnt 0x0
	global_store_b32 v2, v1, s[2:3] scale_offset
.LBB6_15:
	s_endpgm
	.section	.rodata,"a",@progbits
	.p2align	6, 0x0
	.amdhsa_kernel _Z6Match7PKfS0_PfPi
		.amdhsa_group_segment_fixed_size 32768
		.amdhsa_private_segment_fixed_size 0
		.amdhsa_kernarg_size 32
		.amdhsa_user_sgpr_count 2
		.amdhsa_user_sgpr_dispatch_ptr 0
		.amdhsa_user_sgpr_queue_ptr 0
		.amdhsa_user_sgpr_kernarg_segment_ptr 1
		.amdhsa_user_sgpr_dispatch_id 0
		.amdhsa_user_sgpr_kernarg_preload_length 0
		.amdhsa_user_sgpr_kernarg_preload_offset 0
		.amdhsa_user_sgpr_private_segment_size 0
		.amdhsa_wavefront_size32 1
		.amdhsa_uses_dynamic_stack 0
		.amdhsa_enable_private_segment 0
		.amdhsa_system_sgpr_workgroup_id_x 1
		.amdhsa_system_sgpr_workgroup_id_y 0
		.amdhsa_system_sgpr_workgroup_id_z 0
		.amdhsa_system_sgpr_workgroup_info 0
		.amdhsa_system_vgpr_workitem_id 1
		.amdhsa_next_free_vgpr 54
		.amdhsa_next_free_sgpr 12
		.amdhsa_named_barrier_count 0
		.amdhsa_reserve_vcc 1
		.amdhsa_float_round_mode_32 0
		.amdhsa_float_round_mode_16_64 0
		.amdhsa_float_denorm_mode_32 3
		.amdhsa_float_denorm_mode_16_64 3
		.amdhsa_fp16_overflow 0
		.amdhsa_memory_ordered 1
		.amdhsa_forward_progress 1
		.amdhsa_inst_pref_size 16
		.amdhsa_round_robin_scheduling 0
		.amdhsa_exception_fp_ieee_invalid_op 0
		.amdhsa_exception_fp_denorm_src 0
		.amdhsa_exception_fp_ieee_div_zero 0
		.amdhsa_exception_fp_ieee_overflow 0
		.amdhsa_exception_fp_ieee_underflow 0
		.amdhsa_exception_fp_ieee_inexact 0
		.amdhsa_exception_int_div_zero 0
	.end_amdhsa_kernel
	.text
.Lfunc_end6:
	.size	_Z6Match7PKfS0_PfPi, .Lfunc_end6-_Z6Match7PKfS0_PfPi
                                        ; -- End function
	.set _Z6Match7PKfS0_PfPi.num_vgpr, 54
	.set _Z6Match7PKfS0_PfPi.num_agpr, 0
	.set _Z6Match7PKfS0_PfPi.numbered_sgpr, 12
	.set _Z6Match7PKfS0_PfPi.num_named_barrier, 0
	.set _Z6Match7PKfS0_PfPi.private_seg_size, 0
	.set _Z6Match7PKfS0_PfPi.uses_vcc, 1
	.set _Z6Match7PKfS0_PfPi.uses_flat_scratch, 0
	.set _Z6Match7PKfS0_PfPi.has_dyn_sized_stack, 0
	.set _Z6Match7PKfS0_PfPi.has_recursion, 0
	.set _Z6Match7PKfS0_PfPi.has_indirect_call, 0
	.section	.AMDGPU.csdata,"",@progbits
; Kernel info:
; codeLenInByte = 2004
; TotalNumSgprs: 14
; NumVgprs: 54
; ScratchSize: 0
; MemoryBound: 0
; FloatMode: 240
; IeeeMode: 1
; LDSByteSize: 32768 bytes/workgroup (compile time only)
; SGPRBlocks: 0
; VGPRBlocks: 3
; NumSGPRsForWavesPerEU: 14
; NumVGPRsForWavesPerEU: 54
; NamedBarCnt: 0
; Occupancy: 16
; WaveLimiterHint : 0
; COMPUTE_PGM_RSRC2:SCRATCH_EN: 0
; COMPUTE_PGM_RSRC2:USER_SGPR: 2
; COMPUTE_PGM_RSRC2:TRAP_HANDLER: 0
; COMPUTE_PGM_RSRC2:TGID_X_EN: 1
; COMPUTE_PGM_RSRC2:TGID_Y_EN: 0
; COMPUTE_PGM_RSRC2:TGID_Z_EN: 0
; COMPUTE_PGM_RSRC2:TIDIG_COMP_CNT: 1
	.text
	.protected	_Z6Match8PKfS0_PfPi     ; -- Begin function _Z6Match8PKfS0_PfPi
	.globl	_Z6Match8PKfS0_PfPi
	.p2align	8
	.type	_Z6Match8PKfS0_PfPi,@function
_Z6Match8PKfS0_PfPi:                    ; @_Z6Match8PKfS0_PfPi
; %bb.0:
	v_bfe_u32 v15, v0, 10, 10
	v_lshrrev_b32_e32 v1, 10, v0
	s_bfe_u32 s2, ttmp6, 0x4000c
	s_and_b32 s3, ttmp6, 15
	s_add_co_i32 s2, s2, 1
	v_lshlrev_b32_e32 v2, 5, v15
	v_bitop3_b32 v1, v0, v1, 0x3ff bitop3:0xa8
	s_mul_i32 s2, ttmp9, s2
	s_getreg_b32 s4, hwreg(HW_REG_IB_STS2, 6, 4)
	s_add_co_i32 s3, s3, s2
	s_cmp_eq_u32 s4, 0
	v_cmp_gt_u32_e32 vcc_lo, 32, v1
	v_cmp_lt_u32_e64 s2, 31, v1
	v_lshlrev_b32_e32 v1, 9, v15
	s_cselect_b32 s10, ttmp9, s3
	s_and_saveexec_b32 s3, s2
	s_delay_alu instid0(SALU_CYCLE_1)
	s_xor_b32 s2, exec_lo, s3
; %bb.1:
	v_dual_lshlrev_b32 v2, 5, v15 :: v_dual_lshlrev_b32 v1, 9, v15
; %bb.2:
	s_or_saveexec_b32 s11, s2
	s_clause 0x1
	s_load_b128 s[4:7], s[0:1], 0x8
	s_load_b64 s[8:9], s[0:1], 0x18
	v_and_b32_e32 v14, 0x3ff, v0
	s_xor_b32 exec_lo, exec_lo, s11
	s_cbranch_execz .LBB7_6
; %bb.3:
	s_load_b64 s[2:3], s[0:1], 0x0
	s_delay_alu instid0(VALU_DEP_1)
	v_dual_add_nc_u32 v0, v15, v14 :: v_dual_mov_b32 v4, v1
	v_lshl_add_u32 v3, s10, 10, v2
	v_mov_b32_e32 v5, v15
	s_wait_xcnt 0x0
	s_mov_b32 s1, 0
.LBB7_4:                                ; =>This Inner Loop Header: Depth=1
	s_delay_alu instid0(VALU_DEP_2) | instskip(NEXT) | instid1(VALU_DEP_2)
	v_dual_add_nc_u32 v6, v14, v3 :: v_dual_bitop2_b32 v10, 31, v0 bitop3:0x40
	v_add_nc_u32_e32 v11, 8, v5
	v_cmp_lt_u32_e64 s0, 23, v5
	v_add_nc_u16 v0, v0, 8
	s_wait_kmcnt 0x0
	global_load_b128 v[6:9], v6, s[2:3] scale_offset
	v_add_nc_u32_e32 v3, 0x100, v3
	v_lshl_add_u32 v10, v10, 4, v4
	v_dual_mov_b32 v5, v11 :: v_dual_add_nc_u32 v4, 0x1000, v4
	s_or_b32 s1, s0, s1
	s_wait_loadcnt 0x0
	ds_store_b128 v10, v[6:9]
	s_wait_xcnt 0x0
	s_and_not1_b32 exec_lo, exec_lo, s1
	s_cbranch_execnz .LBB7_4
; %bb.5:
	s_or_b32 exec_lo, exec_lo, s1
.LBB7_6:
	s_delay_alu instid0(SALU_CYCLE_1) | instskip(NEXT) | instid1(VALU_DEP_1)
	s_or_b32 exec_lo, exec_lo, s11
	v_dual_add_nc_u32 v2, v2, v14 :: v_dual_bitop2_b32 v16, 15, v14 bitop3:0x40
	v_dual_add_nc_u32 v18, -8, v15 :: v_dual_lshlrev_b32 v0, 4, v14
	s_delay_alu instid0(VALU_DEP_2)
	v_dual_mov_b32 v3, 0 :: v_dual_lshrrev_b32 v17, 4, v2
	v_mov_b64_e32 v[4:5], -1
	s_wait_xcnt 0x0
	v_cmp_gt_u32_e64 s0, 0x80, v2
	v_lshlrev_b32_e32 v19, 9, v16
	v_add3_u32 v20, v1, v0, 0x4000
	s_wait_kmcnt 0x0
	v_lshl_add_u64 v[0:1], v[2:3], 4, s[4:5]
	v_lshlrev_b32_e32 v2, 2, v17
	v_lshl_add_u32 v21, v17, 11, 0x4000
	v_mov_b32_e32 v22, v3
	s_mov_b32 s3, 0
	s_and_saveexec_b32 s2, vcc_lo
	s_cbranch_execz .LBB7_9
.LBB7_7:
	v_mov_b64_e32 v[6:7], v[0:1]
	v_dual_mov_b32 v8, v20 :: v_dual_mov_b32 v9, v18
	s_mov_b32 s4, 0
.LBB7_8:                                ; =>This Inner Loop Header: Depth=1
	global_load_b128 v[10:13], v[6:7], off
	v_add_nc_u32_e32 v9, 8, v9
	s_wait_xcnt 0x0
	v_add_nc_u64_e32 v[6:7], 0x1000, v[6:7]
	s_delay_alu instid0(VALU_DEP_2)
	v_cmp_lt_u32_e64 s1, 23, v9
	s_or_b32 s4, s1, s4
	s_wait_loadcnt 0x0
	ds_store_b128 v8, v[10:13]
	v_add_nc_u32_e32 v8, 0x1000, v8
	s_and_not1_b32 exec_lo, exec_lo, s4
	s_cbranch_execnz .LBB7_8
.LBB7_9:                                ; =>This Loop Header: Depth=1
                                        ;     Child Loop BB7_11 Depth 2
	s_or_b32 exec_lo, exec_lo, s2
	s_wait_dscnt 0x0
	s_barrier_signal -1
	s_barrier_wait -1
	s_and_saveexec_b32 s4, s0
	s_cbranch_execz .LBB7_13
; %bb.10:                               ;   in Loop: Header=BB7_9 Depth=1
	v_dual_mov_b32 v12, 0 :: v_dual_mov_b32 v23, v16
	s_mov_b32 s1, 0
	s_delay_alu instid0(VALU_DEP_1)
	v_dual_mov_b32 v13, v12 :: v_dual_mov_b32 v10, v12
	v_dual_mov_b32 v11, v12 :: v_dual_mov_b32 v8, v12
	;; [unrolled: 1-line block ×3, first 2 shown]
	v_mov_b32_e32 v7, v12
.LBB7_11:                               ;   Parent Loop BB7_9 Depth=1
                                        ; =>  This Inner Loop Header: Depth=2
	v_dual_add_nc_u32 v46, s1, v21 :: v_dual_bitop2_b32 v24, 31, v23 bitop3:0x40
	s_add_co_i32 s1, s1, 32
	s_delay_alu instid0(SALU_CYCLE_1) | instskip(NEXT) | instid1(VALU_DEP_1)
	s_cmp_eq_u32 s1, 0x200
	v_lshl_add_u32 v32, v24, 4, v19
	v_bitop3_b32 v24, v23, 16, 31 bitop3:0x6c
	s_delay_alu instid0(VALU_DEP_1)
	v_lshl_add_u32 v36, v24, 4, v19
	ds_load_b128 v[24:27], v46
	ds_load_b128 v[28:31], v46 offset:16
	ds_load_b128 v[32:35], v32
	ds_load_b128 v[36:39], v36 offset:8192
	s_wait_dscnt 0x0
	v_dual_mov_b32 v40, v32 :: v_dual_mov_b32 v41, v36
	v_dual_mov_b32 v36, v33 :: v_dual_mov_b32 v32, v34
	;; [unrolled: 1-line block ×3, first 2 shown]
	s_delay_alu instid0(VALU_DEP_3) | instskip(NEXT) | instid1(VALU_DEP_1)
	v_pk_fma_f32 v[12:13], v[24:25], v[40:41], v[12:13] op_sel_hi:[0,1,1]
	v_pk_fma_f32 v[12:13], v[24:25], v[36:37], v[12:13] op_sel:[1,0,0]
	v_mov_b32_e32 v24, v27
	s_delay_alu instid0(VALU_DEP_2) | instskip(NEXT) | instid1(VALU_DEP_1)
	v_pk_fma_f32 v[12:13], v[26:27], v[32:33], v[12:13] op_sel_hi:[0,1,1]
	v_pk_fma_f32 v[34:35], v[24:25], v[38:39], v[12:13] op_sel_hi:[0,1,1]
	ds_load_b128 v[24:27], v46 offset:512
	s_wait_dscnt 0x0
	v_pk_fma_f32 v[10:11], v[24:25], v[40:41], v[10:11] op_sel_hi:[0,1,1]
	v_mov_b32_e32 v12, v27
	s_delay_alu instid0(VALU_DEP_2) | instskip(NEXT) | instid1(VALU_DEP_1)
	v_pk_fma_f32 v[10:11], v[24:25], v[36:37], v[10:11] op_sel:[1,0,0]
	v_pk_fma_f32 v[10:11], v[26:27], v[32:33], v[10:11] op_sel_hi:[0,1,1]
	s_delay_alu instid0(VALU_DEP_1) | instskip(SKIP_3) | instid1(VALU_DEP_1)
	v_pk_fma_f32 v[42:43], v[12:13], v[38:39], v[10:11] op_sel_hi:[0,1,1]
	ds_load_b128 v[10:13], v46 offset:1024
	s_wait_dscnt 0x0
	v_pk_fma_f32 v[8:9], v[10:11], v[40:41], v[8:9] op_sel_hi:[0,1,1]
	v_pk_fma_f32 v[8:9], v[10:11], v[36:37], v[8:9] op_sel:[1,0,0]
	v_mov_b32_e32 v10, v13
	s_delay_alu instid0(VALU_DEP_2) | instskip(NEXT) | instid1(VALU_DEP_1)
	v_pk_fma_f32 v[8:9], v[12:13], v[32:33], v[8:9] op_sel_hi:[0,1,1]
	v_pk_fma_f32 v[44:45], v[10:11], v[38:39], v[8:9] op_sel_hi:[0,1,1]
	ds_load_b128 v[8:11], v46 offset:1536
	s_wait_dscnt 0x0
	v_pk_fma_f32 v[6:7], v[8:9], v[40:41], v[6:7] op_sel_hi:[0,1,1]
	s_delay_alu instid0(VALU_DEP_1) | instskip(SKIP_1) | instid1(VALU_DEP_2)
	v_pk_fma_f32 v[6:7], v[8:9], v[36:37], v[6:7] op_sel:[1,0,0]
	v_mov_b32_e32 v8, v11
	v_pk_fma_f32 v[6:7], v[10:11], v[32:33], v[6:7] op_sel_hi:[0,1,1]
	s_delay_alu instid0(VALU_DEP_1) | instskip(SKIP_1) | instid1(VALU_DEP_1)
	v_pk_fma_f32 v[32:33], v[8:9], v[38:39], v[6:7] op_sel_hi:[0,1,1]
	v_dual_add_nc_u32 v6, 1, v23 :: v_dual_add_nc_u32 v23, 2, v23
	v_and_b32_e32 v7, 31, v6
	v_bitop3_b32 v6, v6, 16, 31 bitop3:0x6c
	s_delay_alu instid0(VALU_DEP_2) | instskip(NEXT) | instid1(VALU_DEP_2)
	v_lshl_add_u32 v7, v7, 4, v19
	v_lshl_add_u32 v10, v6, 4, v19
	ds_load_b128 v[6:9], v7
	ds_load_b128 v[24:27], v10 offset:8192
	s_wait_dscnt 0x0
	v_dual_mov_b32 v36, v6 :: v_dual_mov_b32 v37, v24
	v_mov_b32_e32 v24, v7
	s_delay_alu instid0(VALU_DEP_2) | instskip(SKIP_2) | instid1(VALU_DEP_3)
	v_pk_fma_f32 v[10:11], v[28:29], v[36:37], v[34:35] op_sel_hi:[0,1,1]
	v_dual_mov_b32 v34, v8 :: v_dual_mov_b32 v35, v26
	v_dual_mov_b32 v8, v31 :: v_dual_mov_b32 v26, v9
	v_pk_fma_f32 v[6:7], v[28:29], v[24:25], v[10:11] op_sel:[1,0,0]
	s_delay_alu instid0(VALU_DEP_1) | instskip(NEXT) | instid1(VALU_DEP_1)
	v_pk_fma_f32 v[6:7], v[30:31], v[34:35], v[6:7] op_sel_hi:[0,1,1]
	v_pk_fma_f32 v[12:13], v[8:9], v[26:27], v[6:7] op_sel_hi:[0,1,1]
	ds_load_b128 v[6:9], v46 offset:528
	s_wait_dscnt 0x0
	v_pk_fma_f32 v[10:11], v[6:7], v[36:37], v[42:43] op_sel_hi:[0,1,1]
	s_delay_alu instid0(VALU_DEP_1) | instskip(NEXT) | instid1(VALU_DEP_1)
	v_pk_fma_f32 v[6:7], v[6:7], v[24:25], v[10:11] op_sel:[1,0,0]
	v_pk_fma_f32 v[6:7], v[8:9], v[34:35], v[6:7] op_sel_hi:[0,1,1]
	v_mov_b32_e32 v8, v9
	s_delay_alu instid0(VALU_DEP_1) | instskip(SKIP_3) | instid1(VALU_DEP_1)
	v_pk_fma_f32 v[10:11], v[8:9], v[26:27], v[6:7] op_sel_hi:[0,1,1]
	ds_load_b128 v[6:9], v46 offset:1040
	s_wait_dscnt 0x0
	v_pk_fma_f32 v[28:29], v[6:7], v[36:37], v[44:45] op_sel_hi:[0,1,1]
	v_pk_fma_f32 v[6:7], v[6:7], v[24:25], v[28:29] op_sel:[1,0,0]
	ds_load_b128 v[28:31], v46 offset:1552
	v_pk_fma_f32 v[6:7], v[8:9], v[34:35], v[6:7] op_sel_hi:[0,1,1]
	v_mov_b32_e32 v8, v9
	s_delay_alu instid0(VALU_DEP_1) | instskip(SKIP_2) | instid1(VALU_DEP_1)
	v_pk_fma_f32 v[8:9], v[8:9], v[26:27], v[6:7] op_sel_hi:[0,1,1]
	s_wait_dscnt 0x0
	v_pk_fma_f32 v[6:7], v[28:29], v[36:37], v[32:33] op_sel_hi:[0,1,1]
	v_pk_fma_f32 v[6:7], v[28:29], v[24:25], v[6:7] op_sel:[1,0,0]
	v_mov_b32_e32 v24, v31
	s_delay_alu instid0(VALU_DEP_2) | instskip(NEXT) | instid1(VALU_DEP_1)
	v_pk_fma_f32 v[6:7], v[30:31], v[34:35], v[6:7] op_sel_hi:[0,1,1]
	v_pk_fma_f32 v[6:7], v[24:25], v[26:27], v[6:7] op_sel_hi:[0,1,1]
	s_cbranch_scc0 .LBB7_11
; %bb.12:                               ;   in Loop: Header=BB7_9 Depth=1
	v_cmp_gt_f32_e64 s1, v12, v3
	v_cmp_gt_f32_e64 s2, v13, v22
	s_delay_alu instid0(VALU_DEP_2) | instskip(NEXT) | instid1(VALU_DEP_1)
	v_dual_cndmask_b32 v3, v3, v12, s1 :: v_dual_bitop2_b32 v23, s3, v2 bitop3:0x54
	v_dual_cndmask_b32 v12, v22, v13, s2 :: v_dual_bitop2_b32 v13, 1, v23 bitop3:0x54
	v_dual_cndmask_b32 v4, v4, v23, s1 :: v_dual_cndmask_b32 v5, v5, v23, s2
	s_delay_alu instid0(VALU_DEP_3) | instskip(NEXT) | instid1(VALU_DEP_3)
	v_cmp_gt_f32_e64 s1, v10, v3
	v_cmp_gt_f32_e64 s2, v11, v12
	s_delay_alu instid0(VALU_DEP_1) | instskip(NEXT) | instid1(VALU_DEP_4)
	v_dual_cndmask_b32 v3, v3, v10, s1 :: v_dual_cndmask_b32 v10, v12, v11, s2
	v_dual_cndmask_b32 v4, v4, v13, s1 :: v_dual_cndmask_b32 v5, v5, v13, s2
	s_delay_alu instid0(VALU_DEP_2) | instskip(NEXT) | instid1(VALU_DEP_3)
	v_cmp_gt_f32_e64 s1, v8, v3
	v_cmp_gt_f32_e64 s2, v9, v10
	s_delay_alu instid0(VALU_DEP_2) | instskip(NEXT) | instid1(VALU_DEP_2)
	v_dual_cndmask_b32 v3, v3, v8, s1 :: v_dual_bitop2_b32 v11, 2, v23 bitop3:0x54
	v_dual_cndmask_b32 v8, v10, v9, s2 :: v_dual_bitop2_b32 v9, 3, v23 bitop3:0x54
	s_delay_alu instid0(VALU_DEP_2) | instskip(NEXT) | instid1(VALU_DEP_3)
	v_dual_cndmask_b32 v4, v4, v11, s1 :: v_dual_cndmask_b32 v5, v5, v11, s2
	v_cmp_gt_f32_e64 s1, v6, v3
	s_delay_alu instid0(VALU_DEP_3) | instskip(NEXT) | instid1(VALU_DEP_1)
	v_cmp_gt_f32_e64 s2, v7, v8
	v_dual_cndmask_b32 v4, v4, v9, s1 :: v_dual_cndmask_b32 v5, v5, v9, s2
	v_dual_cndmask_b32 v3, v3, v6, s1 :: v_dual_cndmask_b32 v22, v8, v7, s2
.LBB7_13:                               ;   in Loop: Header=BB7_9 Depth=1
	s_or_b32 exec_lo, exec_lo, s4
	v_add_nc_u64_e32 v[0:1], 0x4000, v[0:1]
	s_add_co_i32 s1, s3, 32
	s_cmp_gt_u32 s3, 0x3fdf
	s_barrier_signal -1
	s_barrier_wait -1
	s_cbranch_scc1 .LBB7_15
; %bb.14:                               ;   in Loop: Header=BB7_9 Depth=1
	s_mov_b32 s3, s1
	s_and_saveexec_b32 s2, vcc_lo
	s_cbranch_execnz .LBB7_7
	s_branch .LBB7_9
.LBB7_15:
	s_and_saveexec_b32 s1, s0
	s_cbranch_execz .LBB7_17
; %bb.16:
	v_lshlrev_b32_e32 v0, 2, v16
	s_delay_alu instid0(VALU_DEP_1) | instskip(NEXT) | instid1(VALU_DEP_1)
	v_lshl_or_b32 v0, v17, 7, v0
	v_add_nc_u32_e32 v1, 0x400, v0
	ds_store_2addr_b32 v0, v3, v22 offset1:16
	ds_store_2addr_b32 v1, v4, v5 offset1:16
.LBB7_17:
	s_or_b32 exec_lo, exec_lo, s1
	s_wait_dscnt 0x0
	s_barrier_signal -1
	s_barrier_wait -1
	s_mov_b32 s0, exec_lo
	v_cmpx_eq_u32_e32 0, v15
	s_cbranch_execz .LBB7_19
; %bb.18:
	v_dual_lshlrev_b32 v6, 2, v14 :: v_dual_add_nc_u32 v7, 32, v14
	ds_load_2addr_b32 v[0:1], v6 offset1:32
	ds_load_2addr_b32 v[2:3], v6 offset0:64 offset1:96
	ds_load_2addr_b32 v[4:5], v6 offset0:128 offset1:160
	v_add_nc_u32_e32 v8, 64, v14
	s_wait_dscnt 0x2
	v_cmp_gt_f32_e32 vcc_lo, v1, v0
	v_dual_cndmask_b32 v0, v0, v1 :: v_dual_cndmask_b32 v7, v14, v7
	s_wait_dscnt 0x1
	s_delay_alu instid0(VALU_DEP_1)
	v_cmp_gt_f32_e32 vcc_lo, v2, v0
	v_cndmask_b32_e32 v2, v0, v2, vcc_lo
	v_add_nc_u32_e32 v9, 0x60, v14
	ds_load_2addr_b32 v[0:1], v6 offset0:192 offset1:224
	v_cndmask_b32_e32 v6, v7, v8, vcc_lo
	v_cmp_gt_f32_e32 vcc_lo, v3, v2
	v_dual_cndmask_b32 v2, v2, v3 :: v_dual_add_nc_u32 v3, 0x80, v14
	s_delay_alu instid0(VALU_DEP_3) | instskip(SKIP_1) | instid1(VALU_DEP_2)
	v_cndmask_b32_e32 v6, v6, v9, vcc_lo
	s_wait_dscnt 0x1
	v_cmp_gt_f32_e32 vcc_lo, v4, v2
	s_delay_alu instid0(VALU_DEP_2) | instskip(SKIP_2) | instid1(VALU_DEP_2)
	v_cndmask_b32_e32 v3, v6, v3, vcc_lo
	v_cndmask_b32_e32 v2, v2, v4, vcc_lo
	v_add_nc_u32_e32 v4, 0xa0, v14
	v_cmp_gt_f32_e32 vcc_lo, v5, v2
	s_delay_alu instid0(VALU_DEP_2) | instskip(SKIP_2) | instid1(VALU_DEP_2)
	v_dual_cndmask_b32 v3, v3, v4 :: v_dual_cndmask_b32 v2, v2, v5
	v_add_nc_u32_e32 v5, 0xc0, v14
	s_wait_dscnt 0x0
	v_cmp_gt_f32_e32 vcc_lo, v0, v2
	s_delay_alu instid0(VALU_DEP_2) | instskip(SKIP_1) | instid1(VALU_DEP_2)
	v_dual_cndmask_b32 v3, v3, v5 :: v_dual_cndmask_b32 v0, v2, v0
	v_add_nc_u32_e32 v2, 0xe0, v14
	v_cmp_gt_f32_e32 vcc_lo, v1, v0
	s_delay_alu instid0(VALU_DEP_2) | instskip(SKIP_1) | instid1(VALU_DEP_2)
	v_dual_cndmask_b32 v0, v0, v1 :: v_dual_cndmask_b32 v1, v3, v2
	v_lshl_add_u32 v2, s10, 5, v14
	v_lshlrev_b32_e32 v1, 2, v1
	ds_load_b32 v1, v1 offset:1024
	global_store_b32 v2, v0, s[6:7] scale_offset
	s_wait_dscnt 0x0
	global_store_b32 v2, v1, s[8:9] scale_offset
.LBB7_19:
	s_endpgm
	.section	.rodata,"a",@progbits
	.p2align	6, 0x0
	.amdhsa_kernel _Z6Match8PKfS0_PfPi
		.amdhsa_group_segment_fixed_size 32768
		.amdhsa_private_segment_fixed_size 0
		.amdhsa_kernarg_size 32
		.amdhsa_user_sgpr_count 2
		.amdhsa_user_sgpr_dispatch_ptr 0
		.amdhsa_user_sgpr_queue_ptr 0
		.amdhsa_user_sgpr_kernarg_segment_ptr 1
		.amdhsa_user_sgpr_dispatch_id 0
		.amdhsa_user_sgpr_kernarg_preload_length 0
		.amdhsa_user_sgpr_kernarg_preload_offset 0
		.amdhsa_user_sgpr_private_segment_size 0
		.amdhsa_wavefront_size32 1
		.amdhsa_uses_dynamic_stack 0
		.amdhsa_enable_private_segment 0
		.amdhsa_system_sgpr_workgroup_id_x 1
		.amdhsa_system_sgpr_workgroup_id_y 0
		.amdhsa_system_sgpr_workgroup_id_z 0
		.amdhsa_system_sgpr_workgroup_info 0
		.amdhsa_system_vgpr_workitem_id 1
		.amdhsa_next_free_vgpr 47
		.amdhsa_next_free_sgpr 12
		.amdhsa_named_barrier_count 0
		.amdhsa_reserve_vcc 1
		.amdhsa_float_round_mode_32 0
		.amdhsa_float_round_mode_16_64 0
		.amdhsa_float_denorm_mode_32 3
		.amdhsa_float_denorm_mode_16_64 3
		.amdhsa_fp16_overflow 0
		.amdhsa_memory_ordered 1
		.amdhsa_forward_progress 1
		.amdhsa_inst_pref_size 15
		.amdhsa_round_robin_scheduling 0
		.amdhsa_exception_fp_ieee_invalid_op 0
		.amdhsa_exception_fp_denorm_src 0
		.amdhsa_exception_fp_ieee_div_zero 0
		.amdhsa_exception_fp_ieee_overflow 0
		.amdhsa_exception_fp_ieee_underflow 0
		.amdhsa_exception_fp_ieee_inexact 0
		.amdhsa_exception_int_div_zero 0
	.end_amdhsa_kernel
	.text
.Lfunc_end7:
	.size	_Z6Match8PKfS0_PfPi, .Lfunc_end7-_Z6Match8PKfS0_PfPi
                                        ; -- End function
	.set _Z6Match8PKfS0_PfPi.num_vgpr, 47
	.set _Z6Match8PKfS0_PfPi.num_agpr, 0
	.set _Z6Match8PKfS0_PfPi.numbered_sgpr, 12
	.set _Z6Match8PKfS0_PfPi.num_named_barrier, 0
	.set _Z6Match8PKfS0_PfPi.private_seg_size, 0
	.set _Z6Match8PKfS0_PfPi.uses_vcc, 1
	.set _Z6Match8PKfS0_PfPi.uses_flat_scratch, 0
	.set _Z6Match8PKfS0_PfPi.has_dyn_sized_stack, 0
	.set _Z6Match8PKfS0_PfPi.has_recursion, 0
	.set _Z6Match8PKfS0_PfPi.has_indirect_call, 0
	.section	.AMDGPU.csdata,"",@progbits
; Kernel info:
; codeLenInByte = 1816
; TotalNumSgprs: 14
; NumVgprs: 47
; ScratchSize: 0
; MemoryBound: 0
; FloatMode: 240
; IeeeMode: 1
; LDSByteSize: 32768 bytes/workgroup (compile time only)
; SGPRBlocks: 0
; VGPRBlocks: 2
; NumSGPRsForWavesPerEU: 14
; NumVGPRsForWavesPerEU: 47
; NamedBarCnt: 0
; Occupancy: 16
; WaveLimiterHint : 0
; COMPUTE_PGM_RSRC2:SCRATCH_EN: 0
; COMPUTE_PGM_RSRC2:USER_SGPR: 2
; COMPUTE_PGM_RSRC2:TRAP_HANDLER: 0
; COMPUTE_PGM_RSRC2:TGID_X_EN: 1
; COMPUTE_PGM_RSRC2:TGID_Y_EN: 0
; COMPUTE_PGM_RSRC2:TGID_Z_EN: 0
; COMPUTE_PGM_RSRC2:TIDIG_COMP_CNT: 1
	.text
	.protected	_Z6Match9PKfS0_PfPi     ; -- Begin function _Z6Match9PKfS0_PfPi
	.globl	_Z6Match9PKfS0_PfPi
	.p2align	8
	.type	_Z6Match9PKfS0_PfPi,@function
_Z6Match9PKfS0_PfPi:                    ; @_Z6Match9PKfS0_PfPi
; %bb.0:
	v_lshrrev_b32_e32 v1, 10, v0
	s_bfe_u32 s2, ttmp6, 0x4000c
	v_bfe_u32 v13, v0, 10, 10
	s_add_co_i32 s2, s2, 1
	s_and_b32 s3, ttmp6, 15
	v_bitop3_b32 v1, v0, v1, 0x3ff bitop3:0xa8
	s_mul_i32 s2, ttmp9, s2
	s_getreg_b32 s4, hwreg(HW_REG_IB_STS2, 6, 4)
	s_add_co_i32 s3, s3, s2
	s_cmp_eq_u32 s4, 0
	v_cmp_gt_u32_e32 vcc_lo, 32, v1
	v_cmp_lt_u32_e64 s2, 31, v1
	v_lshlrev_b32_e32 v1, 9, v13
	s_cselect_b32 s8, ttmp9, s3
	s_and_saveexec_b32 s3, s2
	s_delay_alu instid0(SALU_CYCLE_1)
	s_xor_b32 s2, exec_lo, s3
; %bb.1:
	v_lshlrev_b32_e32 v1, 9, v13
; %bb.2:
	s_or_saveexec_b32 s11, s2
	s_clause 0x1
	s_load_b128 s[4:7], s[0:1], 0x8
	s_load_b64 s[2:3], s[0:1], 0x18
	v_and_b32_e32 v12, 0x3ff, v0
	s_lshl_b32 s10, s8, 5
	s_xor_b32 exec_lo, exec_lo, s11
	s_cbranch_execz .LBB8_18
; %bb.3:
	s_load_b64 s[8:9], s[0:1], 0x0
	v_or_b32_e32 v0, s10, v13
	s_wait_xcnt 0x0
	s_mov_b32 s1, exec_lo
	s_delay_alu instid0(VALU_DEP_1) | instskip(SKIP_4) | instid1(VALU_DEP_1)
	v_lshl_or_b32 v0, v0, 5, v12
	s_wait_kmcnt 0x0
	global_load_b128 v[2:5], v0, s[8:9] scale_offset
	s_wait_xcnt 0x0
	v_add_nc_u32_e32 v0, v13, v12
	v_and_b32_e32 v0, 31, v0
	s_delay_alu instid0(VALU_DEP_1)
	v_lshl_or_b32 v0, v0, 4, v1
	s_wait_loadcnt 0x0
	ds_store_b128 v0, v[2:5]
	v_cmpx_gt_u32_e32 28, v13
	s_xor_b32 s1, exec_lo, s1
	s_cbranch_execz .LBB8_17
; %bb.4:
	v_add_nc_u32_e32 v0, 4, v13
	s_mov_b32 s12, exec_lo
	s_delay_alu instid0(VALU_DEP_1) | instskip(NEXT) | instid1(VALU_DEP_1)
	v_add_nc_u32_e32 v6, v0, v12
	v_dual_add_nc_u32 v2, s10, v0 :: v_dual_bitop2_b32 v6, 31, v6 bitop3:0x40
	s_delay_alu instid0(VALU_DEP_1) | instskip(NEXT) | instid1(VALU_DEP_2)
	v_lshlrev_b32_e32 v6, 4, v6
	v_lshl_or_b32 v2, v2, 5, v12
	s_delay_alu instid0(VALU_DEP_2)
	v_lshl_or_b32 v0, v0, 9, v6
	global_load_b128 v[2:5], v2, s[8:9] scale_offset
	s_wait_loadcnt 0x0
	ds_store_b128 v0, v[2:5]
	v_cmpx_gt_u32_e32 24, v13
	s_xor_b32 s12, exec_lo, s12
	s_cbranch_execz .LBB8_16
; %bb.5:
	v_add_nc_u32_e32 v0, 8, v13
	s_mov_b32 s13, exec_lo
	s_delay_alu instid0(VALU_DEP_1) | instskip(NEXT) | instid1(VALU_DEP_1)
	v_add_nc_u32_e32 v6, v0, v12
	v_dual_add_nc_u32 v2, s10, v0 :: v_dual_bitop2_b32 v6, 31, v6 bitop3:0x40
	s_delay_alu instid0(VALU_DEP_1) | instskip(NEXT) | instid1(VALU_DEP_2)
	v_lshlrev_b32_e32 v6, 4, v6
	v_lshl_or_b32 v2, v2, 5, v12
	s_delay_alu instid0(VALU_DEP_2)
	v_lshl_or_b32 v0, v0, 9, v6
	global_load_b128 v[2:5], v2, s[8:9] scale_offset
	;; [unrolled: 17-line block ×3, first 2 shown]
	s_wait_loadcnt 0x0
	ds_store_b128 v0, v[2:5]
	v_cmpx_gt_u32_e32 16, v13
	s_xor_b32 s14, exec_lo, s14
	s_cbranch_execz .LBB8_14
; %bb.7:
	v_or_b32_e32 v0, 16, v13
	s_mov_b32 s15, exec_lo
	s_delay_alu instid0(VALU_DEP_1) | instskip(NEXT) | instid1(VALU_DEP_1)
	v_add_nc_u32_e32 v6, v0, v12
	v_and_b32_e32 v6, 31, v6
	s_delay_alu instid0(VALU_DEP_1) | instskip(NEXT) | instid1(VALU_DEP_1)
	v_dual_lshlrev_b32 v6, 4, v6 :: v_dual_bitop2_b32 v2, s10, v0 bitop3:0x54
	v_lshl_or_b32 v6, v0, 9, v6
	s_delay_alu instid0(VALU_DEP_2)
	v_lshl_or_b32 v2, v2, 5, v12
	global_load_b128 v[2:5], v2, s[8:9] scale_offset
	s_wait_loadcnt 0x0
	ds_store_b128 v6, v[2:5]
	v_cmpx_gt_u32_e32 28, v0
	s_xor_b32 s15, exec_lo, s15
	s_cbranch_execz .LBB8_13
; %bb.8:
	v_add_nc_u32_e32 v0, 20, v13
	s_mov_b32 s16, exec_lo
	s_delay_alu instid0(VALU_DEP_1) | instskip(NEXT) | instid1(VALU_DEP_1)
	v_add_nc_u32_e32 v6, v0, v12
	v_dual_add_nc_u32 v2, s10, v0 :: v_dual_bitop2_b32 v6, 31, v6 bitop3:0x40
	s_delay_alu instid0(VALU_DEP_1) | instskip(NEXT) | instid1(VALU_DEP_2)
	v_lshlrev_b32_e32 v6, 4, v6
	v_lshl_or_b32 v2, v2, 5, v12
	s_delay_alu instid0(VALU_DEP_2)
	v_lshl_or_b32 v0, v0, 9, v6
	global_load_b128 v[2:5], v2, s[8:9] scale_offset
	s_wait_loadcnt 0x0
	ds_store_b128 v0, v[2:5]
	v_cmpx_gt_u32_e32 8, v13
	s_xor_b32 s16, exec_lo, s16
	s_cbranch_execz .LBB8_12
; %bb.9:
	v_or_b32_e32 v0, 24, v13
	s_delay_alu instid0(VALU_DEP_1) | instskip(NEXT) | instid1(VALU_DEP_1)
	v_add_nc_u32_e32 v6, v0, v12
	v_and_b32_e32 v6, 31, v6
	s_delay_alu instid0(VALU_DEP_1) | instskip(SKIP_1) | instid1(VALU_DEP_2)
	v_dual_lshlrev_b32 v6, 4, v6 :: v_dual_bitop2_b32 v2, s10, v0 bitop3:0x54
	v_cmp_gt_u32_e64 s0, 28, v0
	v_lshl_or_b32 v6, v0, 9, v6
	s_delay_alu instid0(VALU_DEP_3) | instskip(SKIP_4) | instid1(SALU_CYCLE_1)
	v_lshl_or_b32 v2, v2, 5, v12
	global_load_b128 v[2:5], v2, s[8:9] scale_offset
	s_wait_loadcnt 0x0
	ds_store_b128 v6, v[2:5]
	s_and_saveexec_b32 s17, s0
	s_xor_b32 s0, exec_lo, s17
	s_cbranch_execz .LBB8_11
; %bb.10:
	v_add_nc_u32_e32 v0, 28, v13
	s_delay_alu instid0(VALU_DEP_1) | instskip(NEXT) | instid1(VALU_DEP_1)
	v_add_nc_u32_e32 v6, v0, v12
	v_dual_add_nc_u32 v2, s10, v0 :: v_dual_bitop2_b32 v6, 31, v6 bitop3:0x40
	s_delay_alu instid0(VALU_DEP_1) | instskip(NEXT) | instid1(VALU_DEP_2)
	v_lshlrev_b32_e32 v6, 4, v6
	v_lshl_or_b32 v2, v2, 5, v12
	s_delay_alu instid0(VALU_DEP_2)
	v_lshl_or_b32 v0, v0, 9, v6
	global_load_b128 v[2:5], v2, s[8:9] scale_offset
	s_wait_loadcnt 0x0
	ds_store_b128 v0, v[2:5]
.LBB8_11:
	s_or_b32 exec_lo, exec_lo, s0
.LBB8_12:
	s_delay_alu instid0(SALU_CYCLE_1)
	s_or_b32 exec_lo, exec_lo, s16
.LBB8_13:
	s_delay_alu instid0(SALU_CYCLE_1)
	s_or_b32 exec_lo, exec_lo, s15
.LBB8_14:
	s_delay_alu instid0(SALU_CYCLE_1)
	s_or_b32 exec_lo, exec_lo, s14
.LBB8_15:
	s_delay_alu instid0(SALU_CYCLE_1)
	s_or_b32 exec_lo, exec_lo, s13
.LBB8_16:
	s_delay_alu instid0(SALU_CYCLE_1)
	s_or_b32 exec_lo, exec_lo, s12
.LBB8_17:
	s_delay_alu instid0(SALU_CYCLE_1)
	s_or_b32 exec_lo, exec_lo, s1
.LBB8_18:
	s_delay_alu instid0(SALU_CYCLE_1) | instskip(SKIP_3) | instid1(VALU_DEP_3)
	s_or_b32 exec_lo, exec_lo, s11
	v_lshl_add_u32 v15, v13, 5, v12
	v_dual_lshlrev_b32 v0, 4, v12 :: v_dual_bitop2_b32 v14, 15, v12 bitop3:0x40
	v_dual_mov_b32 v3, 0 :: v_dual_mov_b32 v23, -1
	v_dual_lshlrev_b32 v2, 4, v15 :: v_dual_add_nc_u32 v17, -4, v13
	v_lshrrev_b32_e32 v16, 4, v15
	s_delay_alu instid0(VALU_DEP_4)
	v_add3_u32 v19, v1, v0, 0x4000
	v_lshlrev_b32_e32 v18, 9, v14
	s_wait_kmcnt 0x0
	v_add_nc_u64_e32 v[0:1], s[4:5], v[2:3]
	v_dual_mov_b32 v21, -1 :: v_dual_mov_b32 v22, v3
	v_lshlrev_b32_e32 v20, 2, v16
	v_lshl_add_u32 v2, v16, 11, 0x4000
	s_mov_b32 s4, 0
	s_and_saveexec_b32 s1, vcc_lo
	s_cbranch_execz .LBB8_21
.LBB8_19:
	v_mov_b64_e32 v[4:5], v[0:1]
	v_dual_mov_b32 v6, v19 :: v_dual_mov_b32 v7, v17
	s_mov_b32 s5, 0
.LBB8_20:                               ; =>This Inner Loop Header: Depth=1
	global_load_b128 v[8:11], v[4:5], off
	v_add_nc_u32_e32 v7, 4, v7
	s_wait_xcnt 0x0
	v_add_nc_u64_e32 v[4:5], 0x800, v[4:5]
	s_delay_alu instid0(VALU_DEP_2)
	v_cmp_lt_u32_e64 s0, 27, v7
	s_or_b32 s5, s0, s5
	s_wait_loadcnt 0x0
	ds_store_b128 v6, v[8:11]
	v_add_nc_u32_e32 v6, 0x800, v6
	s_and_not1_b32 exec_lo, exec_lo, s5
	s_cbranch_execnz .LBB8_20
.LBB8_21:                               ; =>This Loop Header: Depth=1
                                        ;     Child Loop BB8_22 Depth 2
	s_or_b32 exec_lo, exec_lo, s1
	v_dual_mov_b32 v10, 0 :: v_dual_mov_b32 v24, v14
	s_mov_b32 s0, 0
	s_wait_dscnt 0x0
	s_barrier_signal -1
	s_delay_alu instid0(VALU_DEP_1)
	v_dual_mov_b32 v11, v10 :: v_dual_mov_b32 v8, v10
	v_dual_mov_b32 v9, v10 :: v_dual_mov_b32 v6, v10
	;; [unrolled: 1-line block ×3, first 2 shown]
	v_mov_b32_e32 v5, v10
	s_barrier_wait -1
.LBB8_22:                               ;   Parent Loop BB8_21 Depth=1
                                        ; =>  This Inner Loop Header: Depth=2
	v_dual_add_nc_u32 v48, s0, v2 :: v_dual_bitop2_b32 v25, 31, v24 bitop3:0x40
	v_bitop3_b32 v26, v24, 16, 31 bitop3:0x6c
	s_add_co_i32 s0, s0, 32
	s_delay_alu instid0(SALU_CYCLE_1) | instskip(NEXT) | instid1(VALU_DEP_2)
	s_cmp_eq_u32 s0, 0x200
	v_lshl_add_u32 v25, v25, 4, v18
	s_delay_alu instid0(VALU_DEP_2)
	v_lshl_add_u32 v38, v26, 4, v18
	ds_load_b128 v[26:29], v48
	ds_load_b128 v[30:33], v48 offset:16
	ds_load_b128 v[34:37], v25
	ds_load_b128 v[38:41], v38 offset:8192
	s_wait_dscnt 0x0
	v_dual_mov_b32 v42, v34 :: v_dual_mov_b32 v43, v38
	v_dual_mov_b32 v38, v35 :: v_dual_mov_b32 v34, v36
	;; [unrolled: 1-line block ×3, first 2 shown]
	s_delay_alu instid0(VALU_DEP_3) | instskip(NEXT) | instid1(VALU_DEP_1)
	v_pk_fma_f32 v[10:11], v[26:27], v[42:43], v[10:11] op_sel_hi:[0,1,1]
	v_pk_fma_f32 v[10:11], v[26:27], v[38:39], v[10:11] op_sel:[1,0,0]
	v_mov_b32_e32 v26, v29
	s_delay_alu instid0(VALU_DEP_2) | instskip(NEXT) | instid1(VALU_DEP_1)
	v_pk_fma_f32 v[10:11], v[28:29], v[34:35], v[10:11] op_sel_hi:[0,1,1]
	v_pk_fma_f32 v[36:37], v[26:27], v[40:41], v[10:11] op_sel_hi:[0,1,1]
	ds_load_b128 v[26:29], v48 offset:512
	s_wait_dscnt 0x0
	v_pk_fma_f32 v[8:9], v[26:27], v[42:43], v[8:9] op_sel_hi:[0,1,1]
	v_mov_b32_e32 v10, v29
	s_delay_alu instid0(VALU_DEP_2) | instskip(NEXT) | instid1(VALU_DEP_1)
	v_pk_fma_f32 v[8:9], v[26:27], v[38:39], v[8:9] op_sel:[1,0,0]
	v_pk_fma_f32 v[8:9], v[28:29], v[34:35], v[8:9] op_sel_hi:[0,1,1]
	s_delay_alu instid0(VALU_DEP_1) | instskip(SKIP_3) | instid1(VALU_DEP_1)
	v_pk_fma_f32 v[44:45], v[10:11], v[40:41], v[8:9] op_sel_hi:[0,1,1]
	ds_load_b128 v[8:11], v48 offset:1024
	s_wait_dscnt 0x0
	v_pk_fma_f32 v[6:7], v[8:9], v[42:43], v[6:7] op_sel_hi:[0,1,1]
	v_pk_fma_f32 v[6:7], v[8:9], v[38:39], v[6:7] op_sel:[1,0,0]
	v_mov_b32_e32 v8, v11
	s_delay_alu instid0(VALU_DEP_2) | instskip(NEXT) | instid1(VALU_DEP_1)
	v_pk_fma_f32 v[6:7], v[10:11], v[34:35], v[6:7] op_sel_hi:[0,1,1]
	v_pk_fma_f32 v[46:47], v[8:9], v[40:41], v[6:7] op_sel_hi:[0,1,1]
	ds_load_b128 v[6:9], v48 offset:1536
	s_wait_dscnt 0x0
	v_pk_fma_f32 v[4:5], v[6:7], v[42:43], v[4:5] op_sel_hi:[0,1,1]
	s_delay_alu instid0(VALU_DEP_1) | instskip(SKIP_1) | instid1(VALU_DEP_2)
	v_pk_fma_f32 v[4:5], v[6:7], v[38:39], v[4:5] op_sel:[1,0,0]
	v_mov_b32_e32 v6, v9
	v_pk_fma_f32 v[4:5], v[8:9], v[34:35], v[4:5] op_sel_hi:[0,1,1]
	s_delay_alu instid0(VALU_DEP_1) | instskip(SKIP_1) | instid1(VALU_DEP_1)
	v_pk_fma_f32 v[34:35], v[6:7], v[40:41], v[4:5] op_sel_hi:[0,1,1]
	v_dual_add_nc_u32 v4, 1, v24 :: v_dual_add_nc_u32 v24, 2, v24
	v_and_b32_e32 v5, 31, v4
	v_bitop3_b32 v4, v4, 16, 31 bitop3:0x6c
	s_delay_alu instid0(VALU_DEP_2) | instskip(NEXT) | instid1(VALU_DEP_2)
	v_lshl_add_u32 v5, v5, 4, v18
	v_lshl_add_u32 v8, v4, 4, v18
	ds_load_b128 v[4:7], v5
	ds_load_b128 v[26:29], v8 offset:8192
	s_wait_dscnt 0x0
	v_dual_mov_b32 v38, v4 :: v_dual_mov_b32 v39, v26
	v_mov_b32_e32 v26, v5
	s_delay_alu instid0(VALU_DEP_2) | instskip(SKIP_2) | instid1(VALU_DEP_3)
	v_pk_fma_f32 v[8:9], v[30:31], v[38:39], v[36:37] op_sel_hi:[0,1,1]
	v_dual_mov_b32 v36, v6 :: v_dual_mov_b32 v37, v28
	v_dual_mov_b32 v6, v33 :: v_dual_mov_b32 v28, v7
	v_pk_fma_f32 v[4:5], v[30:31], v[26:27], v[8:9] op_sel:[1,0,0]
	s_delay_alu instid0(VALU_DEP_1) | instskip(NEXT) | instid1(VALU_DEP_1)
	v_pk_fma_f32 v[4:5], v[32:33], v[36:37], v[4:5] op_sel_hi:[0,1,1]
	v_pk_fma_f32 v[10:11], v[6:7], v[28:29], v[4:5] op_sel_hi:[0,1,1]
	ds_load_b128 v[4:7], v48 offset:528
	s_wait_dscnt 0x0
	v_pk_fma_f32 v[8:9], v[4:5], v[38:39], v[44:45] op_sel_hi:[0,1,1]
	s_delay_alu instid0(VALU_DEP_1) | instskip(NEXT) | instid1(VALU_DEP_1)
	v_pk_fma_f32 v[4:5], v[4:5], v[26:27], v[8:9] op_sel:[1,0,0]
	v_pk_fma_f32 v[4:5], v[6:7], v[36:37], v[4:5] op_sel_hi:[0,1,1]
	v_mov_b32_e32 v6, v7
	s_delay_alu instid0(VALU_DEP_1) | instskip(SKIP_3) | instid1(VALU_DEP_1)
	v_pk_fma_f32 v[8:9], v[6:7], v[28:29], v[4:5] op_sel_hi:[0,1,1]
	ds_load_b128 v[4:7], v48 offset:1040
	s_wait_dscnt 0x0
	v_pk_fma_f32 v[30:31], v[4:5], v[38:39], v[46:47] op_sel_hi:[0,1,1]
	v_pk_fma_f32 v[4:5], v[4:5], v[26:27], v[30:31] op_sel:[1,0,0]
	ds_load_b128 v[30:33], v48 offset:1552
	v_pk_fma_f32 v[4:5], v[6:7], v[36:37], v[4:5] op_sel_hi:[0,1,1]
	v_mov_b32_e32 v6, v7
	s_delay_alu instid0(VALU_DEP_1) | instskip(SKIP_2) | instid1(VALU_DEP_1)
	v_pk_fma_f32 v[6:7], v[6:7], v[28:29], v[4:5] op_sel_hi:[0,1,1]
	s_wait_dscnt 0x0
	v_pk_fma_f32 v[4:5], v[30:31], v[38:39], v[34:35] op_sel_hi:[0,1,1]
	v_pk_fma_f32 v[4:5], v[30:31], v[26:27], v[4:5] op_sel:[1,0,0]
	v_mov_b32_e32 v26, v33
	s_delay_alu instid0(VALU_DEP_2) | instskip(NEXT) | instid1(VALU_DEP_1)
	v_pk_fma_f32 v[4:5], v[32:33], v[36:37], v[4:5] op_sel_hi:[0,1,1]
	v_pk_fma_f32 v[4:5], v[26:27], v[28:29], v[4:5] op_sel_hi:[0,1,1]
	s_cbranch_scc0 .LBB8_22
; %bb.23:                               ;   in Loop: Header=BB8_21 Depth=1
	v_cmp_gt_f32_e64 s0, v10, v3
	v_cmp_gt_f32_e64 s1, v11, v22
	v_add_nc_u32_e32 v24, s4, v20
	v_add_nc_u64_e32 v[0:1], 0x4000, v[0:1]
	s_delay_alu instid0(VALU_DEP_3) | instskip(NEXT) | instid1(VALU_DEP_3)
	v_dual_cndmask_b32 v3, v3, v10, s0 :: v_dual_cndmask_b32 v11, v22, v11, s1
	v_dual_cndmask_b32 v21, v21, v24, s0 :: v_dual_bitop2_b32 v22, 1, v24 bitop3:0x54
	v_cndmask_b32_e64 v10, v23, v24, s1
	s_delay_alu instid0(VALU_DEP_3) | instskip(NEXT) | instid1(VALU_DEP_4)
	v_cmp_gt_f32_e64 s0, v8, v3
	v_cmp_gt_f32_e64 s1, v9, v11
	s_barrier_signal -1
	s_barrier_wait -1
	s_delay_alu instid0(VALU_DEP_1) | instskip(SKIP_2) | instid1(VALU_DEP_2)
	v_dual_cndmask_b32 v21, v21, v22, s0 :: v_dual_cndmask_b32 v10, v10, v22, s1
	v_cndmask_b32_e64 v3, v3, v8, s0
	v_dual_cndmask_b32 v8, v11, v9, s1 :: v_dual_bitop2_b32 v9, 2, v24 bitop3:0x54
	v_cmp_gt_f32_e64 s0, v6, v3
	s_delay_alu instid0(VALU_DEP_2) | instskip(NEXT) | instid1(VALU_DEP_1)
	v_cmp_gt_f32_e64 s1, v7, v8
	v_dual_cndmask_b32 v11, v21, v9, s0 :: v_dual_cndmask_b32 v9, v10, v9, s1
	v_dual_cndmask_b32 v3, v3, v6, s0 :: v_dual_cndmask_b32 v6, v8, v7, s1
	v_or_b32_e32 v7, 3, v24
	s_delay_alu instid0(VALU_DEP_2) | instskip(NEXT) | instid1(VALU_DEP_3)
	v_cmp_gt_f32_e64 s0, v4, v3
	v_cmp_gt_f32_e64 s1, v5, v6
	s_delay_alu instid0(VALU_DEP_1)
	v_dual_cndmask_b32 v21, v11, v7, s0 :: v_dual_cndmask_b32 v23, v9, v7, s1
	v_dual_cndmask_b32 v3, v3, v4, s0 :: v_dual_cndmask_b32 v22, v6, v5, s1
	s_add_co_i32 s0, s4, 32
	s_cmp_gt_u32 s4, 0x3fdf
	s_cbranch_scc1 .LBB8_25
; %bb.24:                               ;   in Loop: Header=BB8_21 Depth=1
	s_mov_b32 s4, s0
	s_and_saveexec_b32 s1, vcc_lo
	s_cbranch_execnz .LBB8_19
	s_branch .LBB8_21
.LBB8_25:
	s_mov_b32 s0, exec_lo
	v_cmpx_gt_u32_e32 0x80, v15
	s_cbranch_execz .LBB8_27
; %bb.26:
	v_lshlrev_b32_e32 v0, 2, v14
	s_delay_alu instid0(VALU_DEP_1) | instskip(NEXT) | instid1(VALU_DEP_1)
	v_lshl_or_b32 v0, v16, 7, v0
	v_add_nc_u32_e32 v1, 0x400, v0
	ds_store_2addr_b32 v0, v3, v22 offset1:16
	ds_store_2addr_b32 v1, v21, v23 offset1:16
.LBB8_27:
	s_or_b32 exec_lo, exec_lo, s0
	s_wait_dscnt 0x0
	s_barrier_signal -1
	s_barrier_wait -1
	s_mov_b32 s0, exec_lo
	v_cmpx_eq_u32_e32 0, v13
	s_cbranch_execz .LBB8_29
; %bb.28:
	v_dual_lshlrev_b32 v6, 2, v12 :: v_dual_add_nc_u32 v7, 32, v12
	ds_load_2addr_b32 v[0:1], v6 offset1:32
	ds_load_2addr_b32 v[2:3], v6 offset0:64 offset1:96
	ds_load_2addr_b32 v[4:5], v6 offset0:128 offset1:160
	v_add_nc_u32_e32 v9, 0x60, v12
	v_add_nc_u32_e32 v8, 64, v12
	s_wait_dscnt 0x2
	v_cmp_gt_f32_e32 vcc_lo, v1, v0
	v_cndmask_b32_e32 v0, v0, v1, vcc_lo
	v_cndmask_b32_e32 v7, v12, v7, vcc_lo
	s_wait_dscnt 0x1
	s_delay_alu instid0(VALU_DEP_2)
	v_cmp_gt_f32_e32 vcc_lo, v2, v0
	v_cndmask_b32_e32 v2, v0, v2, vcc_lo
	ds_load_2addr_b32 v[0:1], v6 offset0:192 offset1:224
	v_cndmask_b32_e32 v6, v7, v8, vcc_lo
	v_cmp_gt_f32_e32 vcc_lo, v3, v2
	v_cndmask_b32_e32 v2, v2, v3, vcc_lo
	s_delay_alu instid0(VALU_DEP_3) | instskip(SKIP_1) | instid1(VALU_DEP_2)
	v_cndmask_b32_e32 v6, v6, v9, vcc_lo
	s_wait_dscnt 0x1
	v_cmp_gt_f32_e32 vcc_lo, v4, v2
	v_cndmask_b32_e32 v2, v2, v4, vcc_lo
	v_add_nc_u32_e32 v3, 0x80, v12
	s_delay_alu instid0(VALU_DEP_1) | instskip(NEXT) | instid1(VALU_DEP_3)
	v_dual_cndmask_b32 v3, v6, v3 :: v_dual_add_nc_u32 v4, 0xa0, v12
	v_cmp_gt_f32_e32 vcc_lo, v5, v2
	s_delay_alu instid0(VALU_DEP_2) | instskip(SKIP_1) | instid1(VALU_DEP_1)
	v_dual_cndmask_b32 v3, v3, v4 :: v_dual_cndmask_b32 v2, v2, v5
	s_wait_dscnt 0x0
	v_cmp_gt_f32_e32 vcc_lo, v0, v2
	v_cndmask_b32_e32 v0, v2, v0, vcc_lo
	v_add_nc_u32_e32 v5, 0xc0, v12
	s_delay_alu instid0(VALU_DEP_1) | instskip(NEXT) | instid1(VALU_DEP_3)
	v_dual_cndmask_b32 v3, v3, v5 :: v_dual_add_nc_u32 v2, 0xe0, v12
	v_cmp_gt_f32_e32 vcc_lo, v1, v0
	s_delay_alu instid0(VALU_DEP_2) | instskip(NEXT) | instid1(VALU_DEP_1)
	v_dual_cndmask_b32 v0, v0, v1 :: v_dual_cndmask_b32 v1, v3, v2
	v_dual_add_nc_u32 v2, s10, v12 :: v_dual_lshlrev_b32 v1, 2, v1
	ds_load_b32 v1, v1 offset:1024
	global_store_b32 v2, v0, s[6:7] scale_offset
	s_wait_dscnt 0x0
	global_store_b32 v2, v1, s[2:3] scale_offset
.LBB8_29:
	s_endpgm
	.section	.rodata,"a",@progbits
	.p2align	6, 0x0
	.amdhsa_kernel _Z6Match9PKfS0_PfPi
		.amdhsa_group_segment_fixed_size 32768
		.amdhsa_private_segment_fixed_size 0
		.amdhsa_kernarg_size 32
		.amdhsa_user_sgpr_count 2
		.amdhsa_user_sgpr_dispatch_ptr 0
		.amdhsa_user_sgpr_queue_ptr 0
		.amdhsa_user_sgpr_kernarg_segment_ptr 1
		.amdhsa_user_sgpr_dispatch_id 0
		.amdhsa_user_sgpr_kernarg_preload_length 0
		.amdhsa_user_sgpr_kernarg_preload_offset 0
		.amdhsa_user_sgpr_private_segment_size 0
		.amdhsa_wavefront_size32 1
		.amdhsa_uses_dynamic_stack 0
		.amdhsa_enable_private_segment 0
		.amdhsa_system_sgpr_workgroup_id_x 1
		.amdhsa_system_sgpr_workgroup_id_y 0
		.amdhsa_system_sgpr_workgroup_id_z 0
		.amdhsa_system_sgpr_workgroup_info 0
		.amdhsa_system_vgpr_workitem_id 1
		.amdhsa_next_free_vgpr 49
		.amdhsa_next_free_sgpr 18
		.amdhsa_named_barrier_count 0
		.amdhsa_reserve_vcc 1
		.amdhsa_float_round_mode_32 0
		.amdhsa_float_round_mode_16_64 0
		.amdhsa_float_denorm_mode_32 3
		.amdhsa_float_denorm_mode_16_64 3
		.amdhsa_fp16_overflow 0
		.amdhsa_memory_ordered 1
		.amdhsa_forward_progress 1
		.amdhsa_inst_pref_size 19
		.amdhsa_round_robin_scheduling 0
		.amdhsa_exception_fp_ieee_invalid_op 0
		.amdhsa_exception_fp_denorm_src 0
		.amdhsa_exception_fp_ieee_div_zero 0
		.amdhsa_exception_fp_ieee_overflow 0
		.amdhsa_exception_fp_ieee_underflow 0
		.amdhsa_exception_fp_ieee_inexact 0
		.amdhsa_exception_int_div_zero 0
	.end_amdhsa_kernel
	.text
.Lfunc_end8:
	.size	_Z6Match9PKfS0_PfPi, .Lfunc_end8-_Z6Match9PKfS0_PfPi
                                        ; -- End function
	.set _Z6Match9PKfS0_PfPi.num_vgpr, 49
	.set _Z6Match9PKfS0_PfPi.num_agpr, 0
	.set _Z6Match9PKfS0_PfPi.numbered_sgpr, 18
	.set _Z6Match9PKfS0_PfPi.num_named_barrier, 0
	.set _Z6Match9PKfS0_PfPi.private_seg_size, 0
	.set _Z6Match9PKfS0_PfPi.uses_vcc, 1
	.set _Z6Match9PKfS0_PfPi.uses_flat_scratch, 0
	.set _Z6Match9PKfS0_PfPi.has_dyn_sized_stack, 0
	.set _Z6Match9PKfS0_PfPi.has_recursion, 0
	.set _Z6Match9PKfS0_PfPi.has_indirect_call, 0
	.section	.AMDGPU.csdata,"",@progbits
; Kernel info:
; codeLenInByte = 2420
; TotalNumSgprs: 20
; NumVgprs: 49
; ScratchSize: 0
; MemoryBound: 0
; FloatMode: 240
; IeeeMode: 1
; LDSByteSize: 32768 bytes/workgroup (compile time only)
; SGPRBlocks: 0
; VGPRBlocks: 3
; NumSGPRsForWavesPerEU: 20
; NumVGPRsForWavesPerEU: 49
; NamedBarCnt: 0
; Occupancy: 16
; WaveLimiterHint : 0
; COMPUTE_PGM_RSRC2:SCRATCH_EN: 0
; COMPUTE_PGM_RSRC2:USER_SGPR: 2
; COMPUTE_PGM_RSRC2:TRAP_HANDLER: 0
; COMPUTE_PGM_RSRC2:TGID_X_EN: 1
; COMPUTE_PGM_RSRC2:TGID_Y_EN: 0
; COMPUTE_PGM_RSRC2:TGID_Z_EN: 0
; COMPUTE_PGM_RSRC2:TIDIG_COMP_CNT: 1
	.text
	.protected	_Z7Match10PKfS0_PfPi    ; -- Begin function _Z7Match10PKfS0_PfPi
	.globl	_Z7Match10PKfS0_PfPi
	.p2align	8
	.type	_Z7Match10PKfS0_PfPi,@function
_Z7Match10PKfS0_PfPi:                   ; @_Z7Match10PKfS0_PfPi
; %bb.0:
	v_lshrrev_b32_e32 v1, 10, v0
	s_bfe_u32 s2, ttmp6, 0x4000c
	v_bfe_u32 v63, v0, 10, 10
	s_add_co_i32 s2, s2, 1
	s_and_b32 s3, ttmp6, 15
	v_bitop3_b32 v1, v0, v1, 0x3ff bitop3:0xa8
	s_mul_i32 s2, ttmp9, s2
	s_getreg_b32 s4, hwreg(HW_REG_IB_STS2, 6, 4)
	s_add_co_i32 s3, s3, s2
	s_cmp_eq_u32 s4, 0
	v_cmp_lt_u32_e32 vcc_lo, 31, v1
	v_lshlrev_b32_e32 v1, 5, v63
	s_cselect_b32 s8, ttmp9, s3
	s_and_saveexec_b32 s2, vcc_lo
	s_delay_alu instid0(SALU_CYCLE_1)
	s_xor_b32 s2, exec_lo, s2
; %bb.1:
	v_lshlrev_b32_e32 v1, 5, v63
; %bb.2:
	s_or_saveexec_b32 s9, s2
	s_clause 0x1
	s_load_b128 s[4:7], s[0:1], 0x8
	s_load_b64 s[2:3], s[0:1], 0x18
	v_and_b32_e32 v62, 0x3ff, v0
	s_xor_b32 exec_lo, exec_lo, s9
	s_cbranch_execz .LBB9_6
; %bb.3:
	s_wait_xcnt 0x0
	s_load_b64 s[0:1], s[0:1], 0x0
	v_dual_lshlrev_b32 v0, 9, v63 :: v_dual_add_nc_u32 v2, v63, v62
	v_lshl_add_u32 v3, s8, 10, v1
	v_mov_b32_e32 v4, v63
	s_mov_b32 s10, 0
.LBB9_4:                                ; =>This Inner Loop Header: Depth=1
	s_delay_alu instid0(VALU_DEP_1)
	v_dual_add_nc_u32 v5, v62, v3 :: v_dual_add_nc_u32 v10, 8, v4
	v_cmp_lt_u32_e32 vcc_lo, 23, v4
	v_add_nc_u32_e32 v3, 0x100, v3
	s_wait_kmcnt 0x0
	global_load_b128 v[6:9], v5, s[0:1] scale_offset
	s_wait_xcnt 0x0
	v_dual_mov_b32 v4, v10 :: v_dual_bitop2_b32 v5, 31, v2 bitop3:0x40
	v_add_nc_u16 v2, v2, 8
	s_or_b32 s10, vcc_lo, s10
	s_delay_alu instid0(VALU_DEP_2)
	v_lshl_add_u32 v5, v5, 4, v0
	v_add_nc_u32_e32 v0, 0x1000, v0
	s_wait_loadcnt 0x0
	ds_store_b128 v5, v[6:9]
	s_and_not1_b32 exec_lo, exec_lo, s10
	s_cbranch_execnz .LBB9_4
; %bb.5:
	s_or_b32 exec_lo, exec_lo, s10
.LBB9_6:
	s_delay_alu instid0(SALU_CYCLE_1) | instskip(NEXT) | instid1(VALU_DEP_1)
	s_or_b32 exec_lo, exec_lo, s9
	v_dual_add_nc_u32 v0, v1, v62 :: v_dual_bitop2_b32 v64, 7, v62 bitop3:0x40
	v_dual_mov_b32 v73, -1 :: v_dual_bitop2_b32 v66, 15, v62 bitop3:0x40
	s_mov_b32 s9, 0
	s_delay_alu instid0(VALU_DEP_2) | instskip(NEXT) | instid1(VALU_DEP_3)
	v_dual_lshrrev_b32 v65, 3, v0 :: v_dual_mov_b32 v55, 0
	v_and_or_b32 v2, 0xfff8, v0, v64
	v_lshrrev_b32_e32 v67, 4, v0
	s_wait_xcnt 0x0
	v_cmp_gt_u32_e64 s0, 0x80, v0
	v_lshl_or_b32 v54, v65, 5, v64
	v_dual_mov_b32 v71, -1 :: v_dual_mov_b32 v72, v55
	v_lshl_add_u32 v68, v2, 4, 0x4000
	v_lshl_add_u32 v69, v67, 9, 0x4000
	s_wait_kmcnt 0x0
	v_lshl_add_u64 v[0:1], v[54:55], 4, s[4:5]
	v_dual_lshlrev_b32 v54, 9, v66 :: v_dual_lshlrev_b32 v70, 2, v67
	s_delay_alu instid0(VALU_DEP_2)
	v_add_nc_u64_e32 v[52:53], 0x80, v[0:1]
                                        ; implicit-def: $vgpr0_vgpr1_vgpr2_vgpr3
.LBB9_7:                                ; =>This Loop Header: Depth=1
                                        ;     Child Loop BB9_9 Depth 2
	v_add_nc_u32_e32 v4, s9, v65
	v_mov_b64_e32 v[40:41], 0
	s_delay_alu instid0(VALU_DEP_3)
	v_mov_b64_e32 v[56:57], v[52:53]
	v_mov_b64_e32 v[60:61], 0
	;; [unrolled: 1-line block ×3, first 2 shown]
	v_lshl_or_b32 v4, v4, 5, v64
	v_mov_b64_e32 v[24:25], 0
	s_mov_b32 s1, 0
	global_load_b128 v[4:7], v4, s[4:5] scale_offset
	s_wait_loadcnt 0x0
	ds_store_b128 v68, v[4:7]
	s_wait_dscnt 0x0
	s_barrier_signal -1
	s_barrier_wait -1
	s_branch .LBB9_9
.LBB9_8:                                ;   in Loop: Header=BB9_9 Depth=2
	v_add_nc_u64_e32 v[56:57], 0x80, v[56:57]
	s_and_b32 vcc_lo, exec_lo, s10
	s_add_co_i32 s1, s1, 8
	s_cbranch_vccnz .LBB9_15
.LBB9_9:                                ;   Parent Loop BB9_7 Depth=1
                                        ; =>  This Inner Loop Header: Depth=2
	s_cmp_lt_u32 s1, 24
	s_cselect_b32 s11, -1, 0
	s_cmp_gt_u32 s1, 23
	s_cselect_b32 s10, -1, 0
	s_delay_alu instid0(SALU_CYCLE_1)
	s_and_b32 vcc_lo, exec_lo, s10
	s_cbranch_vccnz .LBB9_11
; %bb.10:                               ;   in Loop: Header=BB9_9 Depth=2
	global_load_b128 v[0:3], v[56:57], off
.LBB9_11:                               ;   in Loop: Header=BB9_9 Depth=2
	s_wait_xcnt 0x0
	s_and_saveexec_b32 s12, s0
	s_cbranch_execz .LBB9_13
; %bb.12:                               ;   in Loop: Header=BB9_9 Depth=2
	v_add_nc_u32_e32 v74, s1, v66
	s_delay_alu instid0(VALU_DEP_1) | instskip(SKIP_1) | instid1(VALU_DEP_2)
	v_and_b32_e32 v4, 31, v74
	v_bitop3_b32 v5, v74, 16, 31 bitop3:0x6c
	v_lshl_add_u32 v4, v4, 4, v54
	s_delay_alu instid0(VALU_DEP_2)
	v_lshl_add_u32 v5, v5, 4, v54
	ds_load_b128 v[12:15], v4
	ds_load_b128 v[4:7], v5 offset:8192
	ds_load_b128 v[76:79], v69
	ds_load_b128 v[44:47], v69 offset:384
	ds_load_b128 v[36:39], v69 offset:16
	ds_load_b128 v[28:31], v69 offset:128
	ds_load_b128 v[48:51], v69 offset:256
	ds_load_b128 v[32:35], v69 offset:272
	ds_load_b128 v[16:19], v69 offset:400
	ds_load_b128 v[8:11], v69 offset:32
	ds_load_b128 v[20:23], v69 offset:144
	s_wait_dscnt 0xa
	v_dual_mov_b32 v84, v12 :: v_dual_add_nc_u32 v26, 1, v74
	v_dual_add_nc_u32 v27, 17, v74 :: v_dual_add_nc_u32 v75, 2, v74
	s_wait_dscnt 0x9
	v_dual_mov_b32 v87, v6 :: v_dual_mov_b32 v6, v15
	s_delay_alu instid0(VALU_DEP_3) | instskip(NEXT) | instid1(VALU_DEP_3)
	v_dual_mov_b32 v85, v4 :: v_dual_bitop2_b32 v26, 31, v26 bitop3:0x40
	v_dual_add_nc_u32 v88, 18, v74 :: v_dual_bitop2_b32 v27, 31, v27 bitop3:0x40
	v_dual_mov_b32 v4, v13 :: v_dual_mov_b32 v86, v14
	s_delay_alu instid0(VALU_DEP_3)
	v_lshl_add_u32 v26, v26, 4, v54
	s_wait_dscnt 0x8
	v_pk_fma_f32 v[12:13], v[76:77], v[84:85], v[24:25] op_sel_hi:[0,1,1]
	v_lshl_add_u32 v24, v27, 4, v54
	s_wait_dscnt 0x7
	v_pk_fma_f32 v[14:15], v[44:45], v[84:85], v[40:41] op_sel_hi:[0,1,1]
	ds_load_b128 v[40:43], v69 offset:288
	ds_load_b128 v[80:83], v26
	v_pk_fma_f32 v[12:13], v[76:77], v[4:5], v[12:13] op_sel:[1,0,0]
	ds_load_b128 v[24:27], v24 offset:8192
	v_dual_mov_b32 v76, v79 :: v_dual_bitop2_b32 v75, 31, v75 bitop3:0x40
	v_pk_fma_f32 v[14:15], v[44:45], v[4:5], v[14:15] op_sel:[1,0,0]
	v_pk_fma_f32 v[78:79], v[78:79], v[86:87], v[12:13] op_sel_hi:[0,1,1]
	s_wait_dscnt 0x7
	v_pk_fma_f32 v[12:13], v[48:49], v[84:85], v[60:61] op_sel_hi:[0,1,1]
	v_dual_add_nc_u32 v61, 3, v74 :: v_dual_bitop2_b32 v60, 31, v88 bitop3:0x40
	v_lshl_add_u32 v44, v75, 4, v54
	v_mov_b32_e32 v88, v51
	s_delay_alu instid0(VALU_DEP_4) | instskip(NEXT) | instid1(VALU_DEP_4)
	v_pk_fma_f32 v[12:13], v[48:49], v[4:5], v[12:13] op_sel:[1,0,0]
	v_lshl_add_u32 v75, v60, 4, v54
	v_pk_fma_f32 v[48:49], v[46:47], v[86:87], v[14:15] op_sel_hi:[0,1,1]
	v_mov_b32_e32 v60, v47
	ds_load_b128 v[44:47], v44
	v_pk_fma_f32 v[50:51], v[50:51], v[86:87], v[12:13] op_sel_hi:[0,1,1]
	v_pk_fma_f32 v[84:85], v[28:29], v[84:85], v[58:59] op_sel_hi:[0,1,1]
	;; [unrolled: 1-line block ×3, first 2 shown]
	s_wait_dscnt 0x2
	v_mov_b32_e32 v58, v80
	v_pk_fma_f32 v[48:49], v[60:61], v[6:7], v[48:49] op_sel_hi:[0,1,1]
	s_wait_dscnt 0x1
	v_mov_b32_e32 v59, v24
	v_pk_fma_f32 v[78:79], v[88:89], v[6:7], v[50:51] op_sel_hi:[0,1,1]
	ds_load_b128 v[12:15], v75 offset:8192
	v_dual_mov_b32 v60, v39 :: v_dual_mov_b32 v24, v81
	v_pk_fma_f32 v[48:49], v[16:17], v[58:59], v[48:49] op_sel_hi:[0,1,1]
	v_pk_fma_f32 v[78:79], v[32:33], v[58:59], v[78:79] op_sel_hi:[0,1,1]
	v_pk_fma_f32 v[4:5], v[28:29], v[4:5], v[84:85] op_sel:[1,0,0]
	v_dual_mov_b32 v50, v82 :: v_dual_mov_b32 v51, v26
	v_mov_b32_e32 v26, v83
	v_pk_fma_f32 v[16:17], v[16:17], v[24:25], v[48:49] op_sel:[1,0,0]
	v_pk_fma_f32 v[28:29], v[32:33], v[24:25], v[78:79] op_sel:[1,0,0]
	v_add_nc_u32_e32 v32, 19, v74
	v_pk_fma_f32 v[4:5], v[30:31], v[86:87], v[4:5] op_sel_hi:[0,1,1]
	v_and_b32_e32 v30, 31, v61
	v_pk_fma_f32 v[76:77], v[36:37], v[58:59], v[76:77] op_sel_hi:[0,1,1]
	v_pk_fma_f32 v[16:17], v[18:19], v[50:51], v[16:17] op_sel_hi:[0,1,1]
	s_wait_dscnt 0x1
	v_dual_mov_b32 v48, v44 :: v_dual_bitop2_b32 v32, 31, v32 bitop3:0x40
	v_mov_b32_e32 v18, v35
	v_lshl_add_u32 v30, v30, 4, v54
	v_pk_fma_f32 v[36:37], v[36:37], v[24:25], v[76:77] op_sel:[1,0,0]
	v_pk_fma_f32 v[28:29], v[34:35], v[50:51], v[28:29] op_sel_hi:[0,1,1]
	v_lshl_add_u32 v44, v32, 4, v54
	s_wait_dscnt 0x0
	v_mov_b32_e32 v49, v12
	ds_load_b128 v[32:35], v30
	ds_load_b128 v[76:79], v69 offset:304
	v_pk_fma_f32 v[36:37], v[38:39], v[50:51], v[36:37] op_sel_hi:[0,1,1]
	v_pk_fma_f32 v[38:39], v[18:19], v[26:27], v[28:29] op_sel_hi:[0,1,1]
	v_mov_b32_e32 v18, v31
	ds_load_b128 v[28:31], v44 offset:8192
	v_dual_mov_b32 v12, v45 :: v_dual_mov_b32 v80, v46
	v_pk_fma_f32 v[38:39], v[40:41], v[48:49], v[38:39] op_sel_hi:[0,1,1]
	v_pk_fma_f32 v[4:5], v[18:19], v[6:7], v[4:5] op_sel_hi:[0,1,1]
	v_dual_mov_b32 v81, v14 :: v_dual_mov_b32 v18, v19
	v_add_nc_u32_e32 v19, 4, v74
	s_delay_alu instid0(VALU_DEP_4)
	v_pk_fma_f32 v[6:7], v[40:41], v[12:13], v[38:39] op_sel:[1,0,0]
	v_pk_fma_f32 v[82:83], v[60:61], v[26:27], v[36:37] op_sel_hi:[0,1,1]
	v_add_nc_u32_e32 v37, 20, v74
	v_pk_fma_f32 v[4:5], v[20:21], v[58:59], v[4:5] op_sel_hi:[0,1,1]
	v_dual_mov_b32 v14, v47 :: v_dual_mov_b32 v36, v43
	v_pk_fma_f32 v[6:7], v[42:43], v[80:81], v[6:7] op_sel_hi:[0,1,1]
	v_pk_fma_f32 v[46:47], v[18:19], v[26:27], v[16:17] op_sel_hi:[0,1,1]
	s_wait_dscnt 0x2
	v_dual_mov_b32 v40, v32 :: v_dual_bitop2_b32 v16, 31, v19 bitop3:0x40
	v_and_b32_e32 v17, 31, v37
	v_pk_fma_f32 v[6:7], v[36:37], v[14:15], v[6:7] op_sel_hi:[0,1,1]
	ds_load_b128 v[36:39], v69 offset:416
	ds_load_b128 v[42:45], v69 offset:160
	s_wait_dscnt 0x2
	v_mov_b32_e32 v41, v28
	v_pk_fma_f32 v[4:5], v[20:21], v[24:25], v[4:5] op_sel:[1,0,0]
	v_lshl_add_u32 v16, v16, 4, v54
	v_lshl_add_u32 v32, v17, 4, v54
	v_mov_b32_e32 v28, v33
	v_pk_fma_f32 v[20:21], v[76:77], v[40:41], v[6:7] op_sel_hi:[0,1,1]
	v_pk_fma_f32 v[24:25], v[22:23], v[50:51], v[4:5] op_sel_hi:[0,1,1]
	ds_load_b128 v[16:19], v16
	ds_load_b128 v[4:7], v32 offset:8192
	v_mov_b32_e32 v22, v23
	ds_load_b128 v[58:61], v69 offset:320
	v_pk_fma_f32 v[32:33], v[76:77], v[28:29], v[20:21] op_sel:[1,0,0]
	v_dual_mov_b32 v20, v34 :: v_dual_mov_b32 v21, v30
	v_pk_fma_f32 v[50:51], v[8:9], v[48:49], v[82:83] op_sel_hi:[0,1,1]
	v_pk_fma_f32 v[22:23], v[22:23], v[26:27], v[24:25] op_sel_hi:[0,1,1]
	ds_load_b128 v[24:27], v69 offset:48
	v_mov_b32_e32 v30, v35
	v_pk_fma_f32 v[76:77], v[78:79], v[20:21], v[32:33] op_sel_hi:[0,1,1]
	v_mov_b32_e32 v78, v79
	v_pk_fma_f32 v[8:9], v[8:9], v[12:13], v[50:51] op_sel:[1,0,0]
	ds_load_b128 v[32:35], v69 offset:176
	s_wait_dscnt 0x5
	v_pk_fma_f32 v[50:51], v[42:43], v[48:49], v[22:23] op_sel_hi:[0,1,1]
	v_pk_fma_f32 v[82:83], v[36:37], v[48:49], v[46:47] op_sel_hi:[0,1,1]
	;; [unrolled: 1-line block ×4, first 2 shown]
	s_wait_dscnt 0x4
	v_dual_mov_b32 v10, v11 :: v_dual_mov_b32 v22, v16
	s_wait_dscnt 0x3
	v_dual_mov_b32 v23, v4 :: v_dual_mov_b32 v4, v17
	v_pk_fma_f32 v[42:43], v[42:43], v[12:13], v[50:51] op_sel:[1,0,0]
	ds_load_b128 v[46:49], v69 offset:432
	v_pk_fma_f32 v[12:13], v[36:37], v[12:13], v[82:83] op_sel:[1,0,0]
	v_pk_fma_f32 v[36:37], v[10:11], v[14:15], v[8:9] op_sel_hi:[0,1,1]
	ds_load_b128 v[8:11], v69 offset:336
	s_wait_dscnt 0x4
	v_pk_fma_f32 v[50:51], v[58:59], v[22:23], v[76:77] op_sel_hi:[0,1,1]
	v_pk_fma_f32 v[16:17], v[44:45], v[80:81], v[42:43] op_sel_hi:[0,1,1]
	v_mov_b32_e32 v42, v45
	v_pk_fma_f32 v[12:13], v[38:39], v[80:81], v[12:13] op_sel_hi:[0,1,1]
	v_mov_b32_e32 v38, v39
	v_pk_fma_f32 v[44:45], v[58:59], v[4:5], v[50:51] op_sel:[1,0,0]
	v_dual_mov_b32 v50, v18 :: v_dual_mov_b32 v51, v6
	s_wait_dscnt 0x3
	v_pk_fma_f32 v[58:59], v[24:25], v[40:41], v[36:37] op_sel_hi:[0,1,1]
	v_pk_fma_f32 v[16:17], v[42:43], v[14:15], v[16:17] op_sel_hi:[0,1,1]
	v_add_nc_u32_e32 v6, 5, v74
	v_pk_fma_f32 v[12:13], v[38:39], v[14:15], v[12:13] op_sel_hi:[0,1,1]
	ds_load_b128 v[36:39], v69 offset:64
	v_pk_fma_f32 v[14:15], v[24:25], v[28:29], v[58:59] op_sel:[1,0,0]
	s_wait_dscnt 0x3
	v_pk_fma_f32 v[16:17], v[32:33], v[40:41], v[16:17] op_sel_hi:[0,1,1]
	v_add_nc_u32_e32 v24, 21, v74
	v_dual_mov_b32 v6, v27 :: v_dual_bitop2_b32 v18, 31, v6 bitop3:0x40
	v_pk_fma_f32 v[80:81], v[60:61], v[50:51], v[44:45] op_sel_hi:[0,1,1]
	ds_load_b128 v[42:45], v69 offset:192
	v_pk_fma_f32 v[16:17], v[32:33], v[28:29], v[16:17] op_sel:[1,0,0]
	v_lshl_add_u32 v25, v18, 4, v54
	v_pk_fma_f32 v[14:15], v[26:27], v[20:21], v[14:15] op_sel_hi:[0,1,1]
	ds_load_b128 v[76:79], v69 offset:448
	s_wait_dscnt 0x4
	v_pk_fma_f32 v[12:13], v[46:47], v[40:41], v[12:13] op_sel_hi:[0,1,1]
	v_dual_mov_b32 v18, v35 :: v_dual_bitop2_b32 v24, 31, v24 bitop3:0x40
	v_pk_fma_f32 v[16:17], v[34:35], v[20:21], v[16:17] op_sel_hi:[0,1,1]
	ds_load_b128 v[32:35], v25
	v_pk_fma_f32 v[12:13], v[46:47], v[28:29], v[12:13] op_sel:[1,0,0]
	v_pk_fma_f32 v[14:15], v[6:7], v[30:31], v[14:15] op_sel_hi:[0,1,1]
	v_lshl_add_u32 v6, v24, 4, v54
	v_mov_b32_e32 v40, v61
	ds_load_b128 v[26:29], v69 offset:80
	v_pk_fma_f32 v[20:21], v[48:49], v[20:21], v[12:13] op_sel_hi:[0,1,1]
	s_wait_dscnt 0x4
	v_pk_fma_f32 v[46:47], v[36:37], v[22:23], v[14:15] op_sel_hi:[0,1,1]
	v_mov_b32_e32 v48, v49
	ds_load_b128 v[12:15], v6 offset:8192
	v_pk_fma_f32 v[24:25], v[18:19], v[30:31], v[16:17] op_sel_hi:[0,1,1]
	v_mov_b32_e32 v6, v19
	ds_load_b128 v[16:19], v69 offset:208
	v_pk_fma_f32 v[20:21], v[48:49], v[30:31], v[20:21] op_sel_hi:[0,1,1]
	v_add_nc_u32_e32 v41, 22, v74
	s_wait_dscnt 0x5
	v_pk_fma_f32 v[30:31], v[42:43], v[22:23], v[24:25] op_sel_hi:[0,1,1]
	v_add_nc_u32_e32 v25, 6, v74
	v_pk_fma_f32 v[36:37], v[36:37], v[4:5], v[46:47] op_sel:[1,0,0]
	s_wait_dscnt 0x4
	v_pk_fma_f32 v[20:21], v[76:77], v[22:23], v[20:21] op_sel_hi:[0,1,1]
	ds_load_b128 v[46:49], v69 offset:464
	s_wait_dscnt 0x4
	v_dual_mov_b32 v24, v33 :: v_dual_bitop2_b32 v25, 31, v25 bitop3:0x40
	v_and_b32_e32 v33, 31, v41
	v_pk_fma_f32 v[22:23], v[42:43], v[4:5], v[30:31] op_sel:[1,0,0]
	v_mov_b32_e32 v30, v39
	v_pk_fma_f32 v[4:5], v[76:77], v[4:5], v[20:21] op_sel:[1,0,0]
	v_lshl_add_u32 v20, v25, 4, v54
	v_pk_fma_f32 v[58:59], v[38:39], v[50:51], v[36:37] op_sel_hi:[0,1,1]
	v_pk_fma_f32 v[42:43], v[44:45], v[50:51], v[22:23] op_sel_hi:[0,1,1]
	v_mov_b32_e32 v44, v45
	v_lshl_add_u32 v21, v33, 4, v54
	ds_load_b128 v[36:39], v20
	ds_load_b128 v[20:23], v21 offset:8192
	v_pk_fma_f32 v[4:5], v[78:79], v[50:51], v[4:5] op_sel_hi:[0,1,1]
	s_wait_dscnt 0x4
	v_dual_mov_b32 v50, v79 :: v_dual_mov_b32 v33, v12
	v_pk_fma_f32 v[30:31], v[30:31], v[6:7], v[58:59] op_sel_hi:[0,1,1]
	v_pk_fma_f32 v[42:43], v[44:45], v[6:7], v[42:43] op_sel_hi:[0,1,1]
	;; [unrolled: 1-line block ×3, first 2 shown]
	s_delay_alu instid0(VALU_DEP_4)
	v_pk_fma_f32 v[4:5], v[50:51], v[6:7], v[4:5] op_sel_hi:[0,1,1]
	v_dual_mov_b32 v25, v13 :: v_dual_add_nc_u32 v75, 7, v74
	v_pk_fma_f32 v[44:45], v[26:27], v[32:33], v[30:31] op_sel_hi:[0,1,1]
	s_wait_dscnt 0x3
	v_pk_fma_f32 v[42:43], v[16:17], v[32:33], v[42:43] op_sel_hi:[0,1,1]
	v_pk_fma_f32 v[50:51], v[8:9], v[32:33], v[40:41] op_sel_hi:[0,1,1]
	s_wait_dscnt 0x2
	v_pk_fma_f32 v[40:41], v[46:47], v[32:33], v[4:5] op_sel_hi:[0,1,1]
	ds_load_b128 v[30:33], v69 offset:96
	ds_load_b128 v[4:7], v69 offset:224
	v_dual_add_nc_u32 v74, 23, v74 :: v_dual_mov_b32 v58, v34
	v_dual_mov_b32 v59, v14 :: v_dual_mov_b32 v14, v35
	v_pk_fma_f32 v[26:27], v[26:27], v[24:25], v[44:45] op_sel:[1,0,0]
	s_wait_dscnt 0x3
	v_dual_mov_b32 v60, v36 :: v_dual_bitop2_b32 v75, 31, v75 bitop3:0x40
	s_wait_dscnt 0x2
	v_dual_mov_b32 v61, v20 :: v_dual_mov_b32 v20, v37
	v_dual_mov_b32 v12, v38 :: v_dual_mov_b32 v13, v22
	v_mov_b32_e32 v22, v39
	ds_load_b128 v[34:37], v69 offset:352
	v_pk_fma_f32 v[44:45], v[46:47], v[24:25], v[40:41] op_sel:[1,0,0]
	v_pk_fma_f32 v[26:27], v[28:29], v[58:59], v[26:27] op_sel_hi:[0,1,1]
	ds_load_b128 v[38:41], v69 offset:480
	v_dual_mov_b32 v28, v29 :: v_dual_bitop2_b32 v29, 31, v74 bitop3:0x40
	v_mov_b32_e32 v76, v49
	v_lshl_add_u32 v77, v75, 4, v54
	v_pk_fma_f32 v[74:75], v[48:49], v[58:59], v[44:45] op_sel_hi:[0,1,1]
	v_pk_fma_f32 v[16:17], v[16:17], v[24:25], v[42:43] op_sel:[1,0,0]
	v_pk_fma_f32 v[46:47], v[28:29], v[14:15], v[26:27] op_sel_hi:[0,1,1]
	v_lshl_add_u32 v48, v29, 4, v54
	ds_load_b128 v[26:29], v69 offset:112
	ds_load_b128 v[42:45], v77
	v_pk_fma_f32 v[8:9], v[8:9], v[24:25], v[50:51] op_sel:[1,0,0]
	v_pk_fma_f32 v[24:25], v[76:77], v[14:15], v[74:75] op_sel_hi:[0,1,1]
	s_wait_dscnt 0x5
	v_pk_fma_f32 v[78:79], v[30:31], v[60:61], v[46:47] op_sel_hi:[0,1,1]
	v_pk_fma_f32 v[16:17], v[18:19], v[58:59], v[16:17] op_sel_hi:[0,1,1]
	v_mov_b32_e32 v18, v19
	v_pk_fma_f32 v[50:51], v[10:11], v[58:59], v[8:9] op_sel_hi:[0,1,1]
	v_mov_b32_e32 v58, v11
	v_pk_fma_f32 v[30:31], v[30:31], v[20:21], v[78:79] op_sel:[1,0,0]
	ds_load_b128 v[46:49], v48 offset:8192
	ds_load_b128 v[8:11], v69 offset:240
	s_wait_dscnt 0x4
	v_pk_fma_f32 v[24:25], v[38:39], v[60:61], v[24:25] op_sel_hi:[0,1,1]
	v_pk_fma_f32 v[18:19], v[18:19], v[14:15], v[16:17] op_sel_hi:[0,1,1]
	;; [unrolled: 1-line block ×3, first 2 shown]
	v_mov_b32_e32 v32, v33
	v_pk_fma_f32 v[50:51], v[58:59], v[14:15], v[50:51] op_sel_hi:[0,1,1]
	ds_load_b128 v[14:17], v69 offset:368
	v_pk_fma_f32 v[24:25], v[38:39], v[20:21], v[24:25] op_sel:[1,0,0]
	v_pk_fma_f32 v[18:19], v[4:5], v[60:61], v[18:19] op_sel_hi:[0,1,1]
	s_wait_dscnt 0x3
	v_mov_b32_e32 v58, v42
	v_pk_fma_f32 v[38:39], v[32:33], v[22:23], v[30:31] op_sel_hi:[0,1,1]
	v_pk_fma_f32 v[50:51], v[34:35], v[60:61], v[50:51] op_sel_hi:[0,1,1]
	ds_load_b128 v[30:33], v69 offset:496
	v_pk_fma_f32 v[4:5], v[4:5], v[20:21], v[18:19] op_sel:[1,0,0]
	v_pk_fma_f32 v[18:19], v[40:41], v[12:13], v[24:25] op_sel_hi:[0,1,1]
	v_pk_fma_f32 v[20:21], v[34:35], v[20:21], v[50:51] op_sel:[1,0,0]
	v_mov_b32_e32 v34, v41
	s_delay_alu instid0(VALU_DEP_4)
	v_pk_fma_f32 v[4:5], v[6:7], v[12:13], v[4:5] op_sel_hi:[0,1,1]
	s_wait_dscnt 0x3
	v_dual_mov_b32 v6, v7 :: v_dual_mov_b32 v59, v46
	v_mov_b32_e32 v46, v43
	v_pk_fma_f32 v[12:13], v[36:37], v[12:13], v[20:21] op_sel_hi:[0,1,1]
	v_mov_b32_e32 v20, v37
	s_delay_alu instid0(VALU_DEP_4)
	v_pk_fma_f32 v[4:5], v[6:7], v[22:23], v[4:5] op_sel_hi:[0,1,1]
	v_mov_b32_e32 v6, v44
	v_pk_fma_f32 v[18:19], v[34:35], v[22:23], v[18:19] op_sel_hi:[0,1,1]
	v_pk_fma_f32 v[24:25], v[26:27], v[58:59], v[38:39] op_sel_hi:[0,1,1]
	;; [unrolled: 1-line block ×3, first 2 shown]
	s_wait_dscnt 0x2
	v_pk_fma_f32 v[4:5], v[8:9], v[58:59], v[4:5] op_sel_hi:[0,1,1]
	v_dual_mov_b32 v7, v48 :: v_dual_mov_b32 v48, v45
	s_wait_dscnt 0x0
	v_pk_fma_f32 v[18:19], v[30:31], v[58:59], v[18:19] op_sel_hi:[0,1,1]
	v_pk_fma_f32 v[12:13], v[14:15], v[58:59], v[12:13] op_sel_hi:[0,1,1]
	v_pk_fma_f32 v[24:25], v[26:27], v[46:47], v[24:25] op_sel:[1,0,0]
	v_pk_fma_f32 v[4:5], v[8:9], v[46:47], v[4:5] op_sel:[1,0,0]
	v_mov_b32_e32 v8, v29
	s_delay_alu instid0(VALU_DEP_4)
	v_pk_fma_f32 v[12:13], v[14:15], v[46:47], v[12:13] op_sel:[1,0,0]
	v_pk_fma_f32 v[14:15], v[30:31], v[46:47], v[18:19] op_sel:[1,0,0]
	v_pk_fma_f32 v[20:21], v[28:29], v[6:7], v[24:25] op_sel_hi:[0,1,1]
	v_pk_fma_f32 v[4:5], v[10:11], v[6:7], v[4:5] op_sel_hi:[0,1,1]
	v_mov_b32_e32 v10, v11
	v_pk_fma_f32 v[12:13], v[16:17], v[6:7], v[12:13] op_sel_hi:[0,1,1]
	v_mov_b32_e32 v16, v17
	;; [unrolled: 2-line block ×3, first 2 shown]
	v_pk_fma_f32 v[24:25], v[8:9], v[48:49], v[20:21] op_sel_hi:[0,1,1]
	v_pk_fma_f32 v[58:59], v[10:11], v[48:49], v[4:5] op_sel_hi:[0,1,1]
	;; [unrolled: 1-line block ×3, first 2 shown]
	s_delay_alu instid0(VALU_DEP_4)
	v_pk_fma_f32 v[40:41], v[14:15], v[48:49], v[6:7] op_sel_hi:[0,1,1]
.LBB9_13:                               ;   in Loop: Header=BB9_9 Depth=2
	s_or_b32 exec_lo, exec_lo, s12
	s_delay_alu instid0(SALU_CYCLE_1)
	s_and_not1_b32 vcc_lo, exec_lo, s11
	s_wait_loadcnt 0x0
	s_barrier_signal -1
	s_barrier_wait -1
	s_cbranch_vccnz .LBB9_8
; %bb.14:                               ;   in Loop: Header=BB9_9 Depth=2
	ds_store_b128 v68, v[0:3]
	s_wait_dscnt 0x0
	s_barrier_signal -1
	s_barrier_wait -1
	s_branch .LBB9_8
.LBB9_15:                               ;   in Loop: Header=BB9_7 Depth=1
	v_cmp_gt_f32_e32 vcc_lo, v24, v55
	v_cmp_gt_f32_e64 s1, v25, v72
	v_add_nc_u32_e32 v4, s9, v70
	v_add_nc_u64_e32 v[52:53], 0x4000, v[52:53]
	s_delay_alu instid0(VALU_DEP_3) | instskip(NEXT) | instid1(VALU_DEP_3)
	v_dual_cndmask_b32 v6, v55, v24, vcc_lo :: v_dual_cndmask_b32 v8, v72, v25, s1
	v_dual_cndmask_b32 v5, v71, v4, vcc_lo :: v_dual_bitop2_b32 v9, 1, v4 bitop3:0x54
	v_cndmask_b32_e64 v7, v73, v4, s1
	s_delay_alu instid0(VALU_DEP_3) | instskip(NEXT) | instid1(VALU_DEP_4)
	v_cmp_gt_f32_e32 vcc_lo, v58, v6
	v_cmp_gt_f32_e64 s1, v59, v8
	s_barrier_signal -1
	s_barrier_wait -1
	s_delay_alu instid0(VALU_DEP_1) | instskip(SKIP_1) | instid1(VALU_DEP_2)
	v_dual_cndmask_b32 v6, v6, v58, vcc_lo :: v_dual_cndmask_b32 v8, v8, v59, s1
	v_dual_cndmask_b32 v5, v5, v9, vcc_lo :: v_dual_cndmask_b32 v7, v7, v9, s1
	v_cmp_gt_f32_e32 vcc_lo, v60, v6
	s_delay_alu instid0(VALU_DEP_3) | instskip(SKIP_1) | instid1(VALU_DEP_2)
	v_cmp_gt_f32_e64 s1, v61, v8
	v_or_b32_e32 v9, 2, v4
	v_dual_cndmask_b32 v8, v8, v61, s1 :: v_dual_bitop2_b32 v4, 3, v4 bitop3:0x54
	s_delay_alu instid0(VALU_DEP_2) | instskip(NEXT) | instid1(VALU_DEP_2)
	v_dual_cndmask_b32 v5, v5, v9, vcc_lo :: v_dual_cndmask_b32 v7, v7, v9, s1
	v_cmp_gt_f32_e64 s1, v41, v8
	s_delay_alu instid0(VALU_DEP_1) | instskip(NEXT) | instid1(VALU_DEP_1)
	v_dual_cndmask_b32 v6, v6, v60, vcc_lo :: v_dual_cndmask_b32 v72, v8, v41, s1
	v_cmp_gt_f32_e32 vcc_lo, v40, v6
	s_delay_alu instid0(VALU_DEP_4)
	v_cndmask_b32_e64 v73, v7, v4, s1
	s_add_co_i32 s1, s9, 32
	s_cmp_gt_u32 s9, 0x3fdf
	v_cndmask_b32_e32 v71, v5, v4, vcc_lo
	v_cndmask_b32_e32 v55, v6, v40, vcc_lo
	s_cbranch_scc1 .LBB9_17
; %bb.16:                               ;   in Loop: Header=BB9_7 Depth=1
	s_mov_b32 s9, s1
	s_branch .LBB9_7
.LBB9_17:
	s_and_saveexec_b32 s1, s0
	s_cbranch_execz .LBB9_19
; %bb.18:
	v_lshlrev_b32_e32 v0, 2, v66
	s_delay_alu instid0(VALU_DEP_1) | instskip(NEXT) | instid1(VALU_DEP_1)
	v_lshl_or_b32 v0, v67, 7, v0
	v_add_nc_u32_e32 v1, 0x400, v0
	ds_store_2addr_b32 v0, v55, v72 offset1:16
	ds_store_2addr_b32 v1, v71, v73 offset1:16
.LBB9_19:
	s_or_b32 exec_lo, exec_lo, s1
	s_wait_dscnt 0x0
	s_barrier_signal -1
	s_barrier_wait -1
	s_mov_b32 s0, exec_lo
	v_cmpx_eq_u32_e32 0, v63
	s_cbranch_execz .LBB9_21
; %bb.20:
	v_dual_lshlrev_b32 v6, 2, v62 :: v_dual_add_nc_u32 v7, 32, v62
	ds_load_2addr_b32 v[0:1], v6 offset1:32
	ds_load_2addr_b32 v[2:3], v6 offset0:64 offset1:96
	ds_load_2addr_b32 v[4:5], v6 offset0:128 offset1:160
	v_add_nc_u32_e32 v8, 64, v62
	s_wait_dscnt 0x2
	v_cmp_gt_f32_e32 vcc_lo, v1, v0
	v_dual_cndmask_b32 v0, v0, v1 :: v_dual_cndmask_b32 v7, v62, v7
	s_wait_dscnt 0x1
	s_delay_alu instid0(VALU_DEP_1)
	v_cmp_gt_f32_e32 vcc_lo, v2, v0
	v_cndmask_b32_e32 v2, v0, v2, vcc_lo
	v_add_nc_u32_e32 v9, 0x60, v62
	ds_load_2addr_b32 v[0:1], v6 offset0:192 offset1:224
	v_cndmask_b32_e32 v6, v7, v8, vcc_lo
	v_cmp_gt_f32_e32 vcc_lo, v3, v2
	v_dual_cndmask_b32 v2, v2, v3 :: v_dual_add_nc_u32 v3, 0x80, v62
	s_delay_alu instid0(VALU_DEP_3) | instskip(SKIP_1) | instid1(VALU_DEP_2)
	v_cndmask_b32_e32 v6, v6, v9, vcc_lo
	s_wait_dscnt 0x1
	v_cmp_gt_f32_e32 vcc_lo, v4, v2
	s_delay_alu instid0(VALU_DEP_2) | instskip(SKIP_2) | instid1(VALU_DEP_2)
	v_cndmask_b32_e32 v3, v6, v3, vcc_lo
	v_cndmask_b32_e32 v2, v2, v4, vcc_lo
	v_add_nc_u32_e32 v4, 0xa0, v62
	v_cmp_gt_f32_e32 vcc_lo, v5, v2
	s_delay_alu instid0(VALU_DEP_2) | instskip(SKIP_2) | instid1(VALU_DEP_2)
	v_dual_cndmask_b32 v3, v3, v4 :: v_dual_cndmask_b32 v2, v2, v5
	v_add_nc_u32_e32 v5, 0xc0, v62
	s_wait_dscnt 0x0
	v_cmp_gt_f32_e32 vcc_lo, v0, v2
	s_delay_alu instid0(VALU_DEP_2) | instskip(SKIP_1) | instid1(VALU_DEP_2)
	v_dual_cndmask_b32 v3, v3, v5 :: v_dual_cndmask_b32 v0, v2, v0
	v_add_nc_u32_e32 v2, 0xe0, v62
	v_cmp_gt_f32_e32 vcc_lo, v1, v0
	s_delay_alu instid0(VALU_DEP_2) | instskip(SKIP_1) | instid1(VALU_DEP_2)
	v_dual_cndmask_b32 v0, v0, v1 :: v_dual_cndmask_b32 v1, v3, v2
	v_lshl_add_u32 v2, s8, 5, v62
	v_lshlrev_b32_e32 v1, 2, v1
	ds_load_b32 v1, v1 offset:1024
	global_store_b32 v2, v0, s[6:7] scale_offset
	s_wait_dscnt 0x0
	global_store_b32 v2, v1, s[2:3] scale_offset
.LBB9_21:
	s_sendmsg sendmsg(MSG_DEALLOC_VGPRS)
	s_endpgm
	.section	.rodata,"a",@progbits
	.p2align	6, 0x0
	.amdhsa_kernel _Z7Match10PKfS0_PfPi
		.amdhsa_group_segment_fixed_size 20480
		.amdhsa_private_segment_fixed_size 0
		.amdhsa_kernarg_size 32
		.amdhsa_user_sgpr_count 2
		.amdhsa_user_sgpr_dispatch_ptr 0
		.amdhsa_user_sgpr_queue_ptr 0
		.amdhsa_user_sgpr_kernarg_segment_ptr 1
		.amdhsa_user_sgpr_dispatch_id 0
		.amdhsa_user_sgpr_kernarg_preload_length 0
		.amdhsa_user_sgpr_kernarg_preload_offset 0
		.amdhsa_user_sgpr_private_segment_size 0
		.amdhsa_wavefront_size32 1
		.amdhsa_uses_dynamic_stack 0
		.amdhsa_enable_private_segment 0
		.amdhsa_system_sgpr_workgroup_id_x 1
		.amdhsa_system_sgpr_workgroup_id_y 0
		.amdhsa_system_sgpr_workgroup_id_z 0
		.amdhsa_system_sgpr_workgroup_info 0
		.amdhsa_system_vgpr_workitem_id 1
		.amdhsa_next_free_vgpr 90
		.amdhsa_next_free_sgpr 13
		.amdhsa_named_barrier_count 0
		.amdhsa_reserve_vcc 1
		.amdhsa_float_round_mode_32 0
		.amdhsa_float_round_mode_16_64 0
		.amdhsa_float_denorm_mode_32 3
		.amdhsa_float_denorm_mode_16_64 3
		.amdhsa_fp16_overflow 0
		.amdhsa_memory_ordered 1
		.amdhsa_forward_progress 1
		.amdhsa_inst_pref_size 28
		.amdhsa_round_robin_scheduling 0
		.amdhsa_exception_fp_ieee_invalid_op 0
		.amdhsa_exception_fp_denorm_src 0
		.amdhsa_exception_fp_ieee_div_zero 0
		.amdhsa_exception_fp_ieee_overflow 0
		.amdhsa_exception_fp_ieee_underflow 0
		.amdhsa_exception_fp_ieee_inexact 0
		.amdhsa_exception_int_div_zero 0
	.end_amdhsa_kernel
	.text
.Lfunc_end9:
	.size	_Z7Match10PKfS0_PfPi, .Lfunc_end9-_Z7Match10PKfS0_PfPi
                                        ; -- End function
	.set _Z7Match10PKfS0_PfPi.num_vgpr, 90
	.set _Z7Match10PKfS0_PfPi.num_agpr, 0
	.set _Z7Match10PKfS0_PfPi.numbered_sgpr, 13
	.set _Z7Match10PKfS0_PfPi.num_named_barrier, 0
	.set _Z7Match10PKfS0_PfPi.private_seg_size, 0
	.set _Z7Match10PKfS0_PfPi.uses_vcc, 1
	.set _Z7Match10PKfS0_PfPi.uses_flat_scratch, 0
	.set _Z7Match10PKfS0_PfPi.has_dyn_sized_stack, 0
	.set _Z7Match10PKfS0_PfPi.has_recursion, 0
	.set _Z7Match10PKfS0_PfPi.has_indirect_call, 0
	.section	.AMDGPU.csdata,"",@progbits
; Kernel info:
; codeLenInByte = 3460
; TotalNumSgprs: 15
; NumVgprs: 90
; ScratchSize: 0
; MemoryBound: 0
; FloatMode: 240
; IeeeMode: 1
; LDSByteSize: 20480 bytes/workgroup (compile time only)
; SGPRBlocks: 0
; VGPRBlocks: 5
; NumSGPRsForWavesPerEU: 15
; NumVGPRsForWavesPerEU: 90
; NamedBarCnt: 0
; Occupancy: 10
; WaveLimiterHint : 0
; COMPUTE_PGM_RSRC2:SCRATCH_EN: 0
; COMPUTE_PGM_RSRC2:USER_SGPR: 2
; COMPUTE_PGM_RSRC2:TRAP_HANDLER: 0
; COMPUTE_PGM_RSRC2:TGID_X_EN: 1
; COMPUTE_PGM_RSRC2:TGID_Y_EN: 0
; COMPUTE_PGM_RSRC2:TGID_Z_EN: 0
; COMPUTE_PGM_RSRC2:TIDIG_COMP_CNT: 1
	.text
	.p2alignl 7, 3214868480
	.fill 96, 4, 3214868480
	.section	.AMDGPU.gpr_maximums,"",@progbits
	.set amdgpu.max_num_vgpr, 0
	.set amdgpu.max_num_agpr, 0
	.set amdgpu.max_num_sgpr, 0
	.text
	.type	__hip_cuid_cbea36a3814083c,@object ; @__hip_cuid_cbea36a3814083c
	.section	.bss,"aw",@nobits
	.globl	__hip_cuid_cbea36a3814083c
__hip_cuid_cbea36a3814083c:
	.byte	0                               ; 0x0
	.size	__hip_cuid_cbea36a3814083c, 1

	.ident	"AMD clang version 22.0.0git (https://github.com/RadeonOpenCompute/llvm-project roc-7.2.4 26084 f58b06dce1f9c15707c5f808fd002e18c2accf7e)"
	.section	".note.GNU-stack","",@progbits
	.addrsig
	.addrsig_sym __hip_cuid_cbea36a3814083c
	.amdgpu_metadata
---
amdhsa.kernels:
  - .args:
      - .actual_access:  read_only
        .address_space:  global
        .offset:         0
        .size:           8
        .value_kind:     global_buffer
      - .actual_access:  read_only
        .address_space:  global
        .offset:         8
        .size:           8
        .value_kind:     global_buffer
      - .actual_access:  write_only
        .address_space:  global
        .offset:         16
        .size:           8
        .value_kind:     global_buffer
      - .actual_access:  write_only
        .address_space:  global
        .offset:         24
        .size:           8
        .value_kind:     global_buffer
    .group_segment_fixed_size: 0
    .kernarg_segment_align: 8
    .kernarg_segment_size: 32
    .language:       OpenCL C
    .language_version:
      - 2
      - 0
    .max_flat_workgroup_size: 1024
    .name:           _Z6Match1PKfS0_PfPi
    .private_segment_fixed_size: 0
    .sgpr_count:     22
    .sgpr_spill_count: 0
    .symbol:         _Z6Match1PKfS0_PfPi.kd
    .uniform_work_group_size: 1
    .uses_dynamic_stack: false
    .vgpr_count:     16
    .vgpr_spill_count: 0
    .wavefront_size: 32
  - .args:
      - .actual_access:  read_only
        .address_space:  global
        .offset:         0
        .size:           8
        .value_kind:     global_buffer
      - .actual_access:  read_only
        .address_space:  global
        .offset:         8
        .size:           8
        .value_kind:     global_buffer
      - .actual_access:  write_only
        .address_space:  global
        .offset:         16
        .size:           8
        .value_kind:     global_buffer
      - .actual_access:  write_only
        .address_space:  global
        .offset:         24
        .size:           8
        .value_kind:     global_buffer
    .group_segment_fixed_size: 17408
    .kernarg_segment_align: 8
    .kernarg_segment_size: 32
    .language:       OpenCL C
    .language_version:
      - 2
      - 0
    .max_flat_workgroup_size: 1024
    .name:           _Z6Match2PKfS0_PfPi
    .private_segment_fixed_size: 0
    .sgpr_count:     14
    .sgpr_spill_count: 0
    .symbol:         _Z6Match2PKfS0_PfPi.kd
    .uniform_work_group_size: 1
    .uses_dynamic_stack: false
    .vgpr_count:     30
    .vgpr_spill_count: 0
    .wavefront_size: 32
  - .args:
      - .actual_access:  read_only
        .address_space:  global
        .offset:         0
        .size:           8
        .value_kind:     global_buffer
      - .actual_access:  read_only
        .address_space:  global
        .offset:         8
        .size:           8
        .value_kind:     global_buffer
      - .actual_access:  write_only
        .address_space:  global
        .offset:         16
        .size:           8
        .value_kind:     global_buffer
      - .actual_access:  write_only
        .address_space:  global
        .offset:         24
        .size:           8
        .value_kind:     global_buffer
    .group_segment_fixed_size: 17472
    .kernarg_segment_align: 8
    .kernarg_segment_size: 32
    .language:       OpenCL C
    .language_version:
      - 2
      - 0
    .max_flat_workgroup_size: 1024
    .name:           _Z6Match3PKfS0_PfPi
    .private_segment_fixed_size: 0
    .sgpr_count:     14
    .sgpr_spill_count: 0
    .symbol:         _Z6Match3PKfS0_PfPi.kd
    .uniform_work_group_size: 1
    .uses_dynamic_stack: false
    .vgpr_count:     30
    .vgpr_spill_count: 0
    .wavefront_size: 32
  - .args:
      - .actual_access:  read_only
        .address_space:  global
        .offset:         0
        .size:           8
        .value_kind:     global_buffer
      - .actual_access:  read_only
        .address_space:  global
        .offset:         8
        .size:           8
        .value_kind:     global_buffer
      - .actual_access:  write_only
        .address_space:  global
        .offset:         16
        .size:           8
        .value_kind:     global_buffer
      - .actual_access:  write_only
        .address_space:  global
        .offset:         24
        .size:           8
        .value_kind:     global_buffer
    .group_segment_fixed_size: 17664
    .kernarg_segment_align: 8
    .kernarg_segment_size: 32
    .language:       OpenCL C
    .language_version:
      - 2
      - 0
    .max_flat_workgroup_size: 1024
    .name:           _Z6Match4PKfS0_PfPi
    .private_segment_fixed_size: 0
    .sgpr_count:     14
    .sgpr_spill_count: 0
    .symbol:         _Z6Match4PKfS0_PfPi.kd
    .uniform_work_group_size: 1
    .uses_dynamic_stack: false
    .vgpr_count:     38
    .vgpr_spill_count: 0
    .wavefront_size: 32
  - .args:
      - .actual_access:  read_only
        .address_space:  global
        .offset:         0
        .size:           8
        .value_kind:     global_buffer
      - .actual_access:  read_only
        .address_space:  global
        .offset:         8
        .size:           8
        .value_kind:     global_buffer
      - .actual_access:  write_only
        .address_space:  global
        .offset:         16
        .size:           8
        .value_kind:     global_buffer
      - .actual_access:  write_only
        .address_space:  global
        .offset:         24
        .size:           8
        .value_kind:     global_buffer
    .group_segment_fixed_size: 17664
    .kernarg_segment_align: 8
    .kernarg_segment_size: 32
    .language:       OpenCL C
    .language_version:
      - 2
      - 0
    .max_flat_workgroup_size: 1024
    .name:           _Z6Match5PKfS0_PfPi
    .private_segment_fixed_size: 0
    .sgpr_count:     14
    .sgpr_spill_count: 0
    .symbol:         _Z6Match5PKfS0_PfPi.kd
    .uniform_work_group_size: 1
    .uses_dynamic_stack: false
    .vgpr_count:     64
    .vgpr_spill_count: 0
    .wavefront_size: 32
  - .args:
      - .actual_access:  read_only
        .address_space:  global
        .offset:         0
        .size:           8
        .value_kind:     global_buffer
      - .actual_access:  read_only
        .address_space:  global
        .offset:         8
        .size:           8
        .value_kind:     global_buffer
      - .actual_access:  write_only
        .address_space:  global
        .offset:         16
        .size:           8
        .value_kind:     global_buffer
      - .actual_access:  write_only
        .address_space:  global
        .offset:         24
        .size:           8
        .value_kind:     global_buffer
    .group_segment_fixed_size: 16640
    .kernarg_segment_align: 8
    .kernarg_segment_size: 32
    .language:       OpenCL C
    .language_version:
      - 2
      - 0
    .max_flat_workgroup_size: 1024
    .name:           _Z6Match6PKfS0_PfPi
    .private_segment_fixed_size: 0
    .sgpr_count:     14
    .sgpr_spill_count: 0
    .symbol:         _Z6Match6PKfS0_PfPi.kd
    .uniform_work_group_size: 1
    .uses_dynamic_stack: false
    .vgpr_count:     64
    .vgpr_spill_count: 0
    .wavefront_size: 32
  - .args:
      - .actual_access:  read_only
        .address_space:  global
        .offset:         0
        .size:           8
        .value_kind:     global_buffer
      - .actual_access:  read_only
        .address_space:  global
        .offset:         8
        .size:           8
        .value_kind:     global_buffer
      - .actual_access:  write_only
        .address_space:  global
        .offset:         16
        .size:           8
        .value_kind:     global_buffer
      - .actual_access:  write_only
        .address_space:  global
        .offset:         24
        .size:           8
        .value_kind:     global_buffer
    .group_segment_fixed_size: 32768
    .kernarg_segment_align: 8
    .kernarg_segment_size: 32
    .language:       OpenCL C
    .language_version:
      - 2
      - 0
    .max_flat_workgroup_size: 1024
    .name:           _Z6Match7PKfS0_PfPi
    .private_segment_fixed_size: 0
    .sgpr_count:     14
    .sgpr_spill_count: 0
    .symbol:         _Z6Match7PKfS0_PfPi.kd
    .uniform_work_group_size: 1
    .uses_dynamic_stack: false
    .vgpr_count:     54
    .vgpr_spill_count: 0
    .wavefront_size: 32
  - .args:
      - .actual_access:  read_only
        .address_space:  global
        .offset:         0
        .size:           8
        .value_kind:     global_buffer
      - .actual_access:  read_only
        .address_space:  global
        .offset:         8
        .size:           8
        .value_kind:     global_buffer
      - .actual_access:  write_only
        .address_space:  global
        .offset:         16
        .size:           8
        .value_kind:     global_buffer
      - .actual_access:  write_only
        .address_space:  global
        .offset:         24
        .size:           8
        .value_kind:     global_buffer
    .group_segment_fixed_size: 32768
    .kernarg_segment_align: 8
    .kernarg_segment_size: 32
    .language:       OpenCL C
    .language_version:
      - 2
      - 0
    .max_flat_workgroup_size: 1024
    .name:           _Z6Match8PKfS0_PfPi
    .private_segment_fixed_size: 0
    .sgpr_count:     14
    .sgpr_spill_count: 0
    .symbol:         _Z6Match8PKfS0_PfPi.kd
    .uniform_work_group_size: 1
    .uses_dynamic_stack: false
    .vgpr_count:     47
    .vgpr_spill_count: 0
    .wavefront_size: 32
  - .args:
      - .actual_access:  read_only
        .address_space:  global
        .offset:         0
        .size:           8
        .value_kind:     global_buffer
      - .actual_access:  read_only
        .address_space:  global
        .offset:         8
        .size:           8
        .value_kind:     global_buffer
      - .actual_access:  write_only
        .address_space:  global
        .offset:         16
        .size:           8
        .value_kind:     global_buffer
      - .actual_access:  write_only
        .address_space:  global
        .offset:         24
        .size:           8
        .value_kind:     global_buffer
    .group_segment_fixed_size: 32768
    .kernarg_segment_align: 8
    .kernarg_segment_size: 32
    .language:       OpenCL C
    .language_version:
      - 2
      - 0
    .max_flat_workgroup_size: 1024
    .name:           _Z6Match9PKfS0_PfPi
    .private_segment_fixed_size: 0
    .sgpr_count:     20
    .sgpr_spill_count: 0
    .symbol:         _Z6Match9PKfS0_PfPi.kd
    .uniform_work_group_size: 1
    .uses_dynamic_stack: false
    .vgpr_count:     49
    .vgpr_spill_count: 0
    .wavefront_size: 32
  - .args:
      - .actual_access:  read_only
        .address_space:  global
        .offset:         0
        .size:           8
        .value_kind:     global_buffer
      - .actual_access:  read_only
        .address_space:  global
        .offset:         8
        .size:           8
        .value_kind:     global_buffer
      - .actual_access:  write_only
        .address_space:  global
        .offset:         16
        .size:           8
        .value_kind:     global_buffer
      - .actual_access:  write_only
        .address_space:  global
        .offset:         24
        .size:           8
        .value_kind:     global_buffer
    .group_segment_fixed_size: 20480
    .kernarg_segment_align: 8
    .kernarg_segment_size: 32
    .language:       OpenCL C
    .language_version:
      - 2
      - 0
    .max_flat_workgroup_size: 1024
    .name:           _Z7Match10PKfS0_PfPi
    .private_segment_fixed_size: 0
    .sgpr_count:     15
    .sgpr_spill_count: 0
    .symbol:         _Z7Match10PKfS0_PfPi.kd
    .uniform_work_group_size: 1
    .uses_dynamic_stack: false
    .vgpr_count:     90
    .vgpr_spill_count: 0
    .wavefront_size: 32
amdhsa.target:   amdgcn-amd-amdhsa--gfx1250
amdhsa.version:
  - 1
  - 2
...

	.end_amdgpu_metadata
